;; amdgpu-corpus repo=ROCm/rocFFT kind=compiled arch=gfx1030 opt=O3
	.text
	.amdgcn_target "amdgcn-amd-amdhsa--gfx1030"
	.amdhsa_code_object_version 6
	.protected	bluestein_single_fwd_len2025_dim1_half_op_CI_CI ; -- Begin function bluestein_single_fwd_len2025_dim1_half_op_CI_CI
	.globl	bluestein_single_fwd_len2025_dim1_half_op_CI_CI
	.p2align	8
	.type	bluestein_single_fwd_len2025_dim1_half_op_CI_CI,@function
bluestein_single_fwd_len2025_dim1_half_op_CI_CI: ; @bluestein_single_fwd_len2025_dim1_half_op_CI_CI
; %bb.0:
	s_load_dwordx4 s[12:15], s[4:5], 0x28
	v_mul_u32_u24_e32 v1, 0x1e6, v0
	v_mov_b32_e32 v25, 0
	s_mov_b32 s0, exec_lo
	v_lshrrev_b32_e32 v1, 16, v1
	v_add_nc_u32_e32 v24, s6, v1
	s_waitcnt lgkmcnt(0)
	v_cmpx_gt_u64_e64 s[12:13], v[24:25]
	s_cbranch_execz .LBB0_2
; %bb.1:
	s_clause 0x1
	s_load_dwordx4 s[8:11], s[4:5], 0x18
	s_load_dwordx4 s[0:3], s[4:5], 0x0
	v_mul_lo_u16 v1, 0x87, v1
	v_mov_b32_e32 v35, 2
	v_sub_nc_u16 v34, v0, v1
	v_and_b32_e32 v72, 0xffff, v34
	v_and_b32_e32 v27, 0xff, v34
	v_lshlrev_b32_e32 v57, 2, v72
	v_add_co_u32 v92, null, 0x21c, v72
	s_waitcnt lgkmcnt(0)
	s_load_dwordx4 s[16:19], s[8:9], 0x0
	v_add_co_u32 v91, null, 0x10e, v72
	v_add_co_u32 v82, s6, s0, v57
	v_add_co_ci_u32_e64 v83, null, s1, 0, s6
	global_load_dword v69, v57, s[0:1]
	v_add_co_u32 v13, vcc_lo, 0x800, v82
	v_add_co_ci_u32_e32 v14, vcc_lo, 0, v83, vcc_lo
	v_add_co_u32 v15, vcc_lo, 0x1000, v82
	v_add_co_ci_u32_e32 v16, vcc_lo, 0, v83, vcc_lo
	s_clause 0x1
	global_load_dword v70, v[13:14], off offset:652
	global_load_dword v71, v[15:16], off offset:1304
	v_mul_u32_u24_e32 v21, 3, v92
	s_waitcnt lgkmcnt(0)
	v_mad_u64_u32 v[0:1], null, s18, v24, 0
	v_mad_u64_u32 v[2:3], null, s16, v72, 0
	s_mul_i32 s6, s17, 0xa8c
	s_mul_hi_u32 s7, s16, 0xa8c
	s_mul_i32 s8, s16, 0xa8c
	s_add_i32 s7, s7, s6
	s_mul_hi_u32 s12, s16, 0xffffed04
	s_mul_i32 s9, s17, 0xffffed04
	v_mad_u64_u32 v[4:5], null, s19, v24, v[1:2]
	s_mul_i32 s13, s16, 0xffffed04
	s_sub_i32 s6, s12, s16
	v_lshlrev_b32_e32 v101, 2, v21
	s_add_i32 s6, s6, s9
	v_add_nc_u32_e32 v77, 0xc00, v57
	v_add_nc_u32_e32 v81, 0x1600, v57
	v_mad_u64_u32 v[5:6], null, s17, v72, v[3:4]
	v_mov_b32_e32 v1, v4
	v_add_nc_u32_e32 v78, 0x1400, v57
	v_add_nc_u32_e32 v76, 0x400, v57
	;; [unrolled: 1-line block ×4, first 2 shown]
	v_lshlrev_b64 v[0:1], 2, v[0:1]
	v_mov_b32_e32 v3, v5
	v_add_nc_u32_e32 v80, 0x1a00, v57
	v_add_nc_u32_e32 v75, 0x1800, v57
	v_add_co_u32 v36, null, 0x195, v72
	v_lshlrev_b64 v[2:3], 2, v[2:3]
	v_add_co_u32 v0, vcc_lo, s14, v0
	v_add_co_ci_u32_e32 v1, vcc_lo, s15, v1, vcc_lo
	v_add_co_u32 v0, vcc_lo, v0, v2
	v_add_co_ci_u32_e32 v1, vcc_lo, v1, v3, vcc_lo
	;; [unrolled: 2-line block ×3, first 2 shown]
	s_clause 0x1
	global_load_dword v8, v[0:1], off
	global_load_dword v5, v[2:3], off
	v_add_co_u32 v0, vcc_lo, v2, s8
	v_add_co_ci_u32_e32 v1, vcc_lo, s7, v3, vcc_lo
	v_add_co_u32 v2, vcc_lo, v0, s13
	v_add_co_ci_u32_e32 v3, vcc_lo, s6, v1, vcc_lo
	global_load_dword v1, v[0:1], off
	v_add_co_u32 v9, vcc_lo, v2, s8
	v_add_co_ci_u32_e32 v10, vcc_lo, s7, v3, vcc_lo
	s_clause 0x2
	global_load_dword v73, v57, s[0:1] offset:540
	global_load_dword v66, v57, s[0:1] offset:1080
	global_load_dword v68, v[13:14], off offset:1192
	s_clause 0x1
	global_load_dword v6, v[2:3], off
	global_load_dword v0, v[9:10], off
	v_add_co_u32 v3, vcc_lo, v9, s8
	v_add_co_ci_u32_e32 v4, vcc_lo, s7, v10, vcc_lo
	v_add_co_u32 v25, vcc_lo, 0x1800, v82
	v_add_co_ci_u32_e32 v26, vcc_lo, 0, v83, vcc_lo
	global_load_dword v67, v[15:16], off offset:1844
	global_load_dword v2, v[3:4], off
	v_add_co_u32 v3, vcc_lo, v3, s13
	v_add_co_ci_u32_e32 v4, vcc_lo, s6, v4, vcc_lo
	global_load_dword v65, v[13:14], off offset:1732
	v_add_co_u32 v9, vcc_lo, v3, s8
	v_add_co_ci_u32_e32 v10, vcc_lo, s7, v4, vcc_lo
	global_load_dword v7, v[3:4], off
	v_add_co_u32 v11, vcc_lo, v9, s8
	v_add_co_ci_u32_e32 v12, vcc_lo, s7, v10, vcc_lo
	global_load_dword v3, v[9:10], off
	v_add_co_u32 v17, vcc_lo, v11, s13
	v_add_co_ci_u32_e32 v18, vcc_lo, s6, v12, vcc_lo
	s_clause 0x1
	global_load_dword v63, v57, s[0:1] offset:1620
	global_load_dword v64, v[25:26], off offset:336
	global_load_dword v4, v[11:12], off
	global_load_dword v62, v[15:16], off offset:224
	global_load_dword v9, v[17:18], off
	v_add_co_u32 v10, vcc_lo, v17, s8
	v_add_co_ci_u32_e32 v11, vcc_lo, s7, v18, vcc_lo
	global_load_dword v61, v[25:26], off offset:876
	v_add_co_u32 v17, vcc_lo, v10, s8
	v_add_co_ci_u32_e32 v18, vcc_lo, s7, v11, vcc_lo
	global_load_dword v10, v[10:11], off
	v_add_co_u32 v19, vcc_lo, v17, s13
	v_add_co_ci_u32_e32 v20, vcc_lo, s6, v18, vcc_lo
	global_load_dword v11, v[17:18], off
	v_add_co_u32 v17, vcc_lo, v19, s8
	v_add_co_ci_u32_e32 v18, vcc_lo, s7, v20, vcc_lo
	global_load_dword v12, v[19:20], off
	v_add_co_u32 v19, vcc_lo, v17, s8
	v_add_co_ci_u32_e32 v20, vcc_lo, s7, v18, vcc_lo
	global_load_dword v60, v[13:14], off offset:112
	global_load_dword v13, v[17:18], off
	global_load_dword v14, v[19:20], off
	s_clause 0x1
	global_load_dword v59, v[15:16], off offset:764
	global_load_dword v58, v[25:26], off offset:1416
	s_load_dwordx4 s[16:19], s[10:11], 0x0
	v_mov_b32_e32 v15, 0xaaab
	v_mul_lo_u16 v16, v34, 3
	v_add_co_u32 v93, s0, 0x87, v72
	v_mul_u32_u24_e32 v19, 3, v91
	v_mul_u32_u24_sdwa v17, v92, v15 dst_sel:DWORD dst_unused:UNUSED_PAD src0_sel:WORD_0 src1_sel:DWORD
	v_lshlrev_b32_sdwa v84, v35, v16 dst_sel:DWORD dst_unused:UNUSED_PAD src0_sel:DWORD src1_sel:WORD_0
	v_mul_lo_u16 v16, 0xab, v27
	v_mul_u32_u24_sdwa v22, v93, v15 dst_sel:DWORD dst_unused:UNUSED_PAD src0_sel:WORD_0 src1_sel:DWORD
	v_mul_u32_u24_e32 v20, 3, v36
	v_mul_u32_u24_sdwa v23, v91, v15 dst_sel:DWORD dst_unused:UNUSED_PAD src0_sel:WORD_0 src1_sel:DWORD
	v_mul_u32_u24_e32 v18, 3, v93
	v_lshrrev_b16 v16, 9, v16
	v_mul_u32_u24_sdwa v15, v36, v15 dst_sel:DWORD dst_unused:UNUSED_PAD src0_sel:WORD_0 src1_sel:DWORD
	v_lshrrev_b32_e32 v17, 17, v17
	v_lshlrev_b32_e32 v103, 2, v19
	v_lshrrev_b32_e32 v19, 17, v22
	v_lshlrev_b32_e32 v102, 2, v20
	;; [unrolled: 2-line block ×3, first 2 shown]
	v_mul_lo_u16 v18, v16, 3
	v_lshrrev_b32_e32 v15, 17, v15
	v_mul_lo_u16 v22, v17, 3
	v_mul_lo_u16 v23, v19, 3
	;; [unrolled: 1-line block ×3, first 2 shown]
	v_sub_nc_u16 v18, v34, v18
	v_add_co_ci_u32_e64 v28, null, 0, 0, s0
	v_cmp_gt_u16_e32 vcc_lo, 0x5a, v34
	s_waitcnt lgkmcnt(0)
	s_mul_hi_u32 s15, s16, 0xa8c
	v_and_b32_e32 v18, 0xff, v18
	s_mul_i32 s20, s16, 0xa8c
	s_waitcnt vmcnt(26)
	v_lshrrev_b32_e32 v21, 16, v8
	v_mul_f16_sdwa v29, v69, v8 dst_sel:DWORD dst_unused:UNUSED_PAD src0_sel:WORD_1 src1_sel:DWORD
	s_waitcnt vmcnt(25)
	v_lshrrev_b32_e32 v31, 16, v5
	v_mul_f16_sdwa v33, v70, v5 dst_sel:DWORD dst_unused:UNUSED_PAD src0_sel:WORD_1 src1_sel:DWORD
	v_mul_f16_sdwa v30, v69, v21 dst_sel:DWORD dst_unused:UNUSED_PAD src0_sel:WORD_1 src1_sel:DWORD
	v_fma_f16 v21, v69, v21, -v29
	v_fmac_f16_e32 v30, v69, v8
	v_mul_f16_sdwa v8, v70, v31 dst_sel:DWORD dst_unused:UNUSED_PAD src0_sel:WORD_1 src1_sel:DWORD
	v_fma_f16 v31, v70, v31, -v33
	s_waitcnt vmcnt(24)
	v_lshrrev_b32_e32 v29, 16, v1
	v_mul_f16_sdwa v33, v71, v1 dst_sel:DWORD dst_unused:UNUSED_PAD src0_sel:WORD_1 src1_sel:DWORD
	v_pack_b32_f16 v21, v30, v21
	v_fmac_f16_e32 v8, v70, v5
	s_waitcnt vmcnt(20)
	v_lshrrev_b32_e32 v30, 16, v6
	v_mul_f16_sdwa v5, v71, v29 dst_sel:DWORD dst_unused:UNUSED_PAD src0_sel:WORD_1 src1_sel:DWORD
	v_mul_f16_sdwa v37, v73, v6 dst_sel:DWORD dst_unused:UNUSED_PAD src0_sel:WORD_1 src1_sel:DWORD
	v_fma_f16 v29, v71, v29, -v33
	v_pack_b32_f16 v8, v8, v31
	s_waitcnt vmcnt(19)
	v_lshrrev_b32_e32 v31, 16, v0
	v_fmac_f16_e32 v5, v71, v1
	v_mul_f16_sdwa v1, v73, v30 dst_sel:DWORD dst_unused:UNUSED_PAD src0_sel:WORD_1 src1_sel:DWORD
	v_mul_f16_sdwa v33, v68, v0 dst_sel:DWORD dst_unused:UNUSED_PAD src0_sel:WORD_1 src1_sel:DWORD
	v_fma_f16 v30, v73, v30, -v37
	ds_write_b32 v57, v8 offset:2700
	v_pack_b32_f16 v5, v5, v29
	v_fmac_f16_e32 v1, v73, v6
	v_mul_f16_sdwa v6, v68, v31 dst_sel:DWORD dst_unused:UNUSED_PAD src0_sel:WORD_1 src1_sel:DWORD
	v_fma_f16 v8, v68, v31, -v33
	s_waitcnt vmcnt(17)
	v_lshrrev_b32_e32 v29, 16, v2
	v_mul_f16_sdwa v31, v67, v2 dst_sel:DWORD dst_unused:UNUSED_PAD src0_sel:WORD_1 src1_sel:DWORD
	ds_write_b32 v57, v5 offset:5400
	v_pack_b32_f16 v1, v1, v30
	v_fmac_f16_e32 v6, v68, v0
	v_mul_f16_sdwa v0, v67, v29 dst_sel:DWORD dst_unused:UNUSED_PAD src0_sel:WORD_1 src1_sel:DWORD
	v_fma_f16 v5, v67, v29, -v31
	s_waitcnt vmcnt(15)
	v_lshrrev_b32_e32 v29, 16, v7
	v_mul_f16_sdwa v30, v66, v7 dst_sel:DWORD dst_unused:UNUSED_PAD src0_sel:WORD_1 src1_sel:DWORD
	ds_write2_b32 v57, v21, v1 offset1:135
	v_pack_b32_f16 v1, v6, v8
	v_fmac_f16_e32 v0, v67, v2
	v_mul_f16_sdwa v2, v66, v29 dst_sel:DWORD dst_unused:UNUSED_PAD src0_sel:WORD_1 src1_sel:DWORD
	s_waitcnt vmcnt(14)
	v_lshrrev_b32_e32 v6, 16, v3
	v_fma_f16 v8, v66, v29, -v30
	v_mul_f16_sdwa v21, v65, v3 dst_sel:DWORD dst_unused:UNUSED_PAD src0_sel:WORD_1 src1_sel:DWORD
	v_pack_b32_f16 v0, v0, v5
	v_fmac_f16_e32 v2, v66, v7
	v_mul_f16_sdwa v5, v65, v6 dst_sel:DWORD dst_unused:UNUSED_PAD src0_sel:WORD_1 src1_sel:DWORD
	s_waitcnt vmcnt(11)
	v_lshrrev_b32_e32 v7, 16, v4
	v_fma_f16 v6, v65, v6, -v21
	v_mul_f16_sdwa v21, v64, v4 dst_sel:DWORD dst_unused:UNUSED_PAD src0_sel:WORD_1 src1_sel:DWORD
	v_pack_b32_f16 v2, v2, v8
	v_fmac_f16_e32 v5, v65, v3
	v_mul_f16_sdwa v3, v64, v7 dst_sel:DWORD dst_unused:UNUSED_PAD src0_sel:WORD_1 src1_sel:DWORD
	s_waitcnt vmcnt(9)
	v_lshrrev_b32_e32 v8, 16, v9
	v_mul_f16_sdwa v29, v63, v9 dst_sel:DWORD dst_unused:UNUSED_PAD src0_sel:WORD_1 src1_sel:DWORD
	v_fma_f16 v7, v64, v7, -v21
	v_pack_b32_f16 v5, v5, v6
	v_fmac_f16_e32 v3, v64, v4
	v_mul_f16_sdwa v4, v63, v8 dst_sel:DWORD dst_unused:UNUSED_PAD src0_sel:WORD_1 src1_sel:DWORD
	v_fma_f16 v6, v63, v8, -v29
	s_waitcnt vmcnt(7)
	v_lshrrev_b32_e32 v8, 16, v10
	v_mul_f16_sdwa v21, v62, v10 dst_sel:DWORD dst_unused:UNUSED_PAD src0_sel:WORD_1 src1_sel:DWORD
	ds_write2_b32 v77, v1, v5 offset0:42 offset1:177
	v_pack_b32_f16 v1, v3, v7
	v_fmac_f16_e32 v4, v63, v9
	s_waitcnt vmcnt(6)
	v_lshrrev_b32_e32 v3, 16, v11
	v_mul_f16_sdwa v5, v62, v8 dst_sel:DWORD dst_unused:UNUSED_PAD src0_sel:WORD_1 src1_sel:DWORD
	v_fma_f16 v7, v62, v8, -v21
	v_mul_f16_sdwa v8, v61, v11 dst_sel:DWORD dst_unused:UNUSED_PAD src0_sel:WORD_1 src1_sel:DWORD
	v_pack_b32_f16 v4, v4, v6
	v_mul_f16_sdwa v6, v61, v3 dst_sel:DWORD dst_unused:UNUSED_PAD src0_sel:WORD_1 src1_sel:DWORD
	s_waitcnt vmcnt(5)
	v_lshrrev_b32_e32 v9, 16, v12
	v_fmac_f16_e32 v5, v62, v10
	v_fma_f16 v3, v61, v3, -v8
	s_waitcnt vmcnt(4)
	v_mul_f16_sdwa v8, v60, v12 dst_sel:DWORD dst_unused:UNUSED_PAD src0_sel:WORD_1 src1_sel:DWORD
	s_waitcnt vmcnt(3)
	v_lshrrev_b32_e32 v10, 16, v13
	s_waitcnt vmcnt(2)
	v_lshrrev_b32_e32 v21, 16, v14
	v_fmac_f16_e32 v6, v61, v11
	v_mul_f16_sdwa v11, v60, v9 dst_sel:DWORD dst_unused:UNUSED_PAD src0_sel:WORD_1 src1_sel:DWORD
	v_fma_f16 v8, v60, v9, -v8
	s_waitcnt vmcnt(1)
	v_mul_f16_sdwa v9, v59, v13 dst_sel:DWORD dst_unused:UNUSED_PAD src0_sel:WORD_1 src1_sel:DWORD
	v_mul_f16_sdwa v29, v59, v10 dst_sel:DWORD dst_unused:UNUSED_PAD src0_sel:WORD_1 src1_sel:DWORD
	s_waitcnt vmcnt(0)
	v_mul_f16_sdwa v30, v58, v14 dst_sel:DWORD dst_unused:UNUSED_PAD src0_sel:WORD_1 src1_sel:DWORD
	v_mul_f16_sdwa v31, v58, v21 dst_sel:DWORD dst_unused:UNUSED_PAD src0_sel:WORD_1 src1_sel:DWORD
	v_fmac_f16_e32 v11, v60, v12
	v_fma_f16 v9, v59, v10, -v9
	v_fmac_f16_e32 v29, v59, v13
	v_fma_f16 v10, v58, v21, -v30
	v_fmac_f16_e32 v31, v58, v14
	v_pack_b32_f16 v3, v6, v3
	v_pack_b32_f16 v6, v11, v8
	;; [unrolled: 1-line block ×5, first 2 shown]
	ds_write2_b32 v81, v0, v1 offset0:77 offset1:212
	ds_write2_b32 v76, v2, v4 offset0:14 offset1:149
	ds_write_b32 v57, v6 offset:2160
	ds_write2_b32 v74, v5, v7 offset0:56 offset1:191
	ds_write2_b32 v80, v3, v8 offset0:91 offset1:226
	s_waitcnt lgkmcnt(0)
	s_barrier
	buffer_gl0_inv
	ds_read2_b32 v[0:1], v78 offset0:70 offset1:205
	ds_read2_b32 v[2:3], v79 offset0:28 offset1:163
	ds_read2_b32 v[4:5], v77 offset0:42 offset1:177
	ds_read2_b32 v[6:7], v57 offset1:135
	ds_read2_b32 v[8:9], v75 offset0:84 offset1:219
	ds_read2_b32 v[10:11], v74 offset0:56 offset1:191
	;; [unrolled: 1-line block ×3, first 2 shown]
	ds_read_b32 v29, v57 offset:7560
	v_mul_lo_u16 v14, v15, 3
	v_sub_nc_u16 v21, v92, v22
	v_sub_nc_u16 v22, v93, v23
	;; [unrolled: 1-line block ×3, first 2 shown]
	s_waitcnt lgkmcnt(0)
	v_sub_nc_u16 v14, v36, v14
	v_lshlrev_b16 v23, 1, v21
	v_lshlrev_b16 v31, 1, v22
	s_barrier
	buffer_gl0_inv
	v_lshlrev_b32_e32 v32, 3, v18
	v_lshlrev_b32_sdwa v23, v35, v23 dst_sel:DWORD dst_unused:UNUSED_PAD src0_sel:DWORD src1_sel:WORD_0
	v_pk_add_f16 v33, v3, v0
	v_pk_add_f16 v37, v3, v0 neg_lo:[0,1] neg_hi:[0,1]
	v_pk_add_f16 v38, v4, v1
	v_pk_add_f16 v39, v7, v4
	v_pk_add_f16 v4, v4, v1 neg_lo:[0,1] neg_hi:[0,1]
	v_pk_add_f16 v3, v6, v3
	v_pk_add_f16 v40, v5, v8
	v_pk_add_f16 v42, v12, v5
	v_pk_add_f16 v5, v5, v8 neg_lo:[0,1] neg_hi:[0,1]
	v_pk_add_f16 v41, v10, v9
	;; [unrolled: 4-line block ×3, first 2 shown]
	v_pk_add_f16 v11, v11, v29 neg_lo:[0,1] neg_hi:[0,1]
	v_pk_fma_f16 v6, v33, 0.5, v6 op_sel_hi:[1,0,1] neg_lo:[1,0,0] neg_hi:[1,0,0]
	v_pk_mul_f16 v33, 0x3aee, v37 op_sel_hi:[0,1]
	v_pk_fma_f16 v7, v38, 0.5, v7 op_sel_hi:[1,0,1] neg_lo:[1,0,0] neg_hi:[1,0,0]
	v_pk_mul_f16 v4, 0x3aee, v4 op_sel_hi:[0,1]
	v_pk_add_f16 v0, v3, v0
	v_pk_fma_f16 v3, v40, 0.5, v12 op_sel_hi:[1,0,1] neg_lo:[1,0,0] neg_hi:[1,0,0]
	v_pk_mul_f16 v5, 0x3aee, v5 op_sel_hi:[0,1]
	v_pk_fma_f16 v12, v41, 0.5, v13 op_sel_hi:[1,0,1] neg_lo:[1,0,0] neg_hi:[1,0,0]
	v_pk_fma_f16 v2, v44, 0.5, v2 op_sel_hi:[1,0,1] neg_lo:[1,0,0] neg_hi:[1,0,0]
	v_pk_mul_f16 v10, 0x3aee, v10 op_sel_hi:[0,1]
	v_pk_add_f16 v13, v45, v29
	v_pk_mul_f16 v11, 0x3aee, v11 op_sel_hi:[0,1]
	v_pk_add_f16 v29, v6, v33 op_sel:[0,1] op_sel_hi:[1,0]
	v_pk_add_f16 v6, v6, v33 op_sel:[0,1] op_sel_hi:[1,0] neg_lo:[0,1] neg_hi:[0,1]
	v_pk_add_f16 v33, v7, v4 op_sel:[0,1] op_sel_hi:[1,0]
	v_pk_add_f16 v4, v7, v4 op_sel:[0,1] op_sel_hi:[1,0] neg_lo:[0,1] neg_hi:[0,1]
	;; [unrolled: 2-line block ×5, first 2 shown]
	v_bfi_b32 v11, 0xffff, v29, v6
	v_bfi_b32 v6, 0xffff, v6, v29
	v_pk_add_f16 v1, v39, v1
	v_bfi_b32 v37, 0xffff, v33, v4
	v_bfi_b32 v4, 0xffff, v4, v33
	v_pk_add_f16 v8, v42, v8
	v_bfi_b32 v33, 0xffff, v7, v3
	v_pk_add_f16 v9, v43, v9
	v_bfi_b32 v3, 0xffff, v3, v7
	v_bfi_b32 v7, 0xffff, v5, v10
	;; [unrolled: 1-line block ×5, first 2 shown]
	ds_write2_b32 v84, v0, v11 offset1:1
	ds_write_b32 v84, v6 offset:8
	ds_write2_b32 v104, v1, v37 offset1:1
	ds_write_b32 v104, v4 offset:8
	;; [unrolled: 2-line block ×5, first 2 shown]
	v_lshlrev_b16 v0, 1, v30
	v_lshlrev_b32_sdwa v1, v35, v31 dst_sel:DWORD dst_unused:UNUSED_PAD src0_sel:DWORD src1_sel:WORD_0
	v_lshlrev_b16 v2, 1, v14
	s_waitcnt lgkmcnt(0)
	s_barrier
	v_lshlrev_b32_sdwa v0, v35, v0 dst_sel:DWORD dst_unused:UNUSED_PAD src0_sel:DWORD src1_sel:WORD_0
	buffer_gl0_inv
	s_clause 0x2
	global_load_dwordx2 v[51:52], v23, s[2:3]
	global_load_dwordx2 v[47:48], v32, s[2:3]
	;; [unrolled: 1-line block ×3, first 2 shown]
	v_lshlrev_b32_sdwa v1, v35, v2 dst_sel:DWORD dst_unused:UNUSED_PAD src0_sel:DWORD src1_sel:WORD_0
	s_clause 0x1
	global_load_dwordx2 v[53:54], v0, s[2:3]
	global_load_dwordx2 v[55:56], v1, s[2:3]
	v_mov_b32_e32 v0, 0xe38f
	v_mul_lo_u16 v1, v27, 57
	v_mad_u16 v4, v20, 9, v30
	v_mad_u16 v6, v15, 9, v14
	;; [unrolled: 1-line block ×3, first 2 shown]
	v_mul_u32_u24_sdwa v2, v91, v0 dst_sel:DWORD dst_unused:UNUSED_PAD src0_sel:WORD_0 src1_sel:DWORD
	v_mul_u32_u24_sdwa v0, v93, v0 dst_sel:DWORD dst_unused:UNUSED_PAD src0_sel:WORD_0 src1_sel:DWORD
	v_lshrrev_b16 v29, 9, v1
	v_lshlrev_b32_sdwa v98, v35, v4 dst_sel:DWORD dst_unused:UNUSED_PAD src0_sel:DWORD src1_sel:WORD_0
	v_lshlrev_b32_sdwa v99, v35, v6 dst_sel:DWORD dst_unused:UNUSED_PAD src0_sel:DWORD src1_sel:WORD_0
	v_lshrrev_b32_e32 v31, 19, v2
	v_lshrrev_b32_e32 v32, 19, v0
	v_mov_b32_e32 v0, 9
	v_mul_lo_u16 v1, v29, 9
	v_lshlrev_b32_sdwa v100, v35, v10 dst_sel:DWORD dst_unused:UNUSED_PAD src0_sel:DWORD src1_sel:WORD_0
	v_mul_lo_u16 v2, v31, 9
	v_mul_lo_u16 v3, v32, 9
	v_mul_u32_u24_sdwa v0, v16, v0 dst_sel:DWORD dst_unused:UNUSED_PAD src0_sel:WORD_0 src1_sel:DWORD
	v_sub_nc_u16 v1, v34, v1
	v_sub_nc_u16 v33, v91, v2
	;; [unrolled: 1-line block ×3, first 2 shown]
	v_add_lshl_u32 v96, v0, v18, 2
	v_mad_u16 v0, v19, 9, v22
	v_and_b32_e32 v37, 0xff, v1
	v_lshlrev_b16 v11, 4, v33
	v_lshlrev_b16 v12, 4, v38
	v_lshlrev_b32_sdwa v97, v35, v0 dst_sel:DWORD dst_unused:UNUSED_PAD src0_sel:DWORD src1_sel:WORD_0
	ds_read2_b32 v[0:1], v74 offset0:56 offset1:191
	ds_read_b32 v16, v57 offset:7560
	ds_read2_b32 v[2:3], v79 offset0:28 offset1:163
	ds_read2_b32 v[4:5], v78 offset0:70 offset1:205
	;; [unrolled: 1-line block ×3, first 2 shown]
	ds_read2_b32 v[8:9], v57 offset1:135
	v_and_b32_e32 v14, 0xffff, v11
	v_and_b32_e32 v20, 0xffff, v12
	ds_read2_b32 v[10:11], v75 offset0:84 offset1:219
	ds_read2_b32 v[12:13], v76 offset0:14 offset1:149
	s_waitcnt vmcnt(0) lgkmcnt(0)
	s_barrier
	v_add_co_u32 v14, s0, s2, v14
	v_add_co_ci_u32_e64 v15, null, s3, 0, s0
	buffer_gl0_inv
	v_lshrrev_b32_e32 v17, 16, v1
	v_lshrrev_b32_e32 v18, 16, v16
	;; [unrolled: 1-line block ×15, first 2 shown]
	v_mul_f16_sdwa v85, v17, v51 dst_sel:DWORD dst_unused:UNUSED_PAD src0_sel:DWORD src1_sel:WORD_1
	v_mul_f16_sdwa v86, v18, v52 dst_sel:DWORD dst_unused:UNUSED_PAD src0_sel:DWORD src1_sel:WORD_1
	;; [unrolled: 1-line block ×20, first 2 shown]
	v_fma_f16 v1, v1, v51, -v85
	v_fma_f16 v16, v16, v52, -v86
	v_fmac_f16_e32 v87, v17, v51
	v_fmac_f16_e32 v88, v18, v52
	v_fma_f16 v3, v3, v47, -v89
	v_fma_f16 v4, v4, v48, -v94
	v_fmac_f16_e32 v90, v21, v47
	v_fmac_f16_e32 v105, v22, v48
	;; [unrolled: 1-line block ×4, first 2 shown]
	v_fma_f16 v5, v5, v50, -v95
	v_fma_f16 v6, v6, v49, -v108
	;; [unrolled: 1-line block ×4, first 2 shown]
	v_fmac_f16_e32 v110, v41, v53
	v_fmac_f16_e32 v115, v43, v54
	;; [unrolled: 1-line block ×4, first 2 shown]
	v_fma_f16 v0, v0, v55, -v111
	v_fma_f16 v11, v11, v56, -v114
	v_add_f16_e32 v17, v1, v16
	v_add_f16_e32 v21, v87, v88
	;; [unrolled: 1-line block ×3, first 2 shown]
	v_sub_f16_e32 v23, v87, v88
	v_add_f16_e32 v42, v107, v106
	v_add_f16_e32 v85, v3, v4
	;; [unrolled: 1-line block ×8, first 2 shown]
	v_sub_f16_e32 v44, v107, v106
	v_add_f16_e32 v107, v112, v116
	v_add_f16_e32 v108, v45, v112
	v_sub_f16_e32 v109, v112, v116
	v_add_f16_e32 v111, v7, v10
	v_add_f16_e32 v112, v12, v7
	;; [unrolled: 1-line block ×5, first 2 shown]
	v_sub_f16_e32 v6, v6, v5
	v_sub_f16_e32 v90, v90, v105
	;; [unrolled: 1-line block ×3, first 2 shown]
	v_add_f16_e32 v94, v0, v11
	v_fmac_f16_e32 v2, -0.5, v17
	v_fmac_f16_e32 v39, -0.5, v42
	v_fma_f16 v8, -0.5, v85, v8
	v_add_f16_e32 v17, v87, v105
	v_add_f16_e32 v4, v86, v4
	v_fmac_f16_e32 v40, -0.5, v89
	v_sub_f16_e32 v1, v1, v16
	v_fmac_f16_e32 v19, -0.5, v21
	v_fmac_f16_e32 v9, -0.5, v30
	v_add_f16_e32 v95, v13, v0
	v_sub_f16_e32 v0, v0, v11
	v_sub_f16_e32 v110, v110, v115
	;; [unrolled: 1-line block ×3, first 2 shown]
	v_add_f16_e32 v5, v41, v5
	v_add_f16_e32 v21, v43, v106
	v_fmac_f16_e32 v45, -0.5, v107
	v_fma_f16 v12, -0.5, v111, v12
	v_add_f16_e32 v30, v113, v115
	v_add_f16_e32 v10, v112, v10
	v_fmac_f16_e32 v46, -0.5, v114
	v_fmac_f16_e32 v13, -0.5, v94
	v_fmamk_f16 v42, v6, 0xbaee, v39
	v_fmac_f16_e32 v39, 0x3aee, v6
	v_pack_b32_f16 v4, v4, v17
	v_fmamk_f16 v6, v90, 0x3aee, v8
	v_fmamk_f16 v17, v3, 0xbaee, v40
	v_fmac_f16_e32 v8, 0xbaee, v90
	v_fmac_f16_e32 v40, 0x3aee, v3
	v_add_f16_e32 v16, v18, v16
	v_add_f16_e32 v18, v22, v88
	v_fmamk_f16 v22, v23, 0x3aee, v2
	v_fmac_f16_e32 v2, 0xbaee, v23
	v_fmamk_f16 v23, v1, 0xbaee, v19
	v_fmac_f16_e32 v19, 0x3aee, v1
	;; [unrolled: 2-line block ×3, first 2 shown]
	v_pack_b32_f16 v3, v5, v21
	v_fmamk_f16 v21, v0, 0xbaee, v45
	v_fmac_f16_e32 v45, 0x3aee, v0
	v_pack_b32_f16 v0, v10, v30
	v_fmamk_f16 v10, v110, 0x3aee, v12
	v_fmamk_f16 v30, v7, 0xbaee, v46
	v_add_f16_e32 v11, v95, v11
	v_add_f16_e32 v41, v108, v116
	v_fmamk_f16 v5, v109, 0x3aee, v13
	v_fmac_f16_e32 v13, 0xbaee, v109
	v_fmac_f16_e32 v12, 0xbaee, v110
	;; [unrolled: 1-line block ×3, first 2 shown]
	v_pack_b32_f16 v6, v6, v17
	v_pack_b32_f16 v8, v8, v40
	;; [unrolled: 1-line block ×12, first 2 shown]
	ds_write2_b32 v96, v4, v6 offset1:3
	ds_write_b32 v96, v8 offset:24
	ds_write2_b32 v97, v3, v1 offset1:3
	ds_write_b32 v97, v9 offset:24
	;; [unrolled: 2-line block ×5, first 2 shown]
	v_add_co_u32 v0, s0, s2, v20
	v_lshlrev_b32_e32 v2, 4, v37
	v_add_co_ci_u32_e64 v1, null, s3, 0, s0
	s_waitcnt lgkmcnt(0)
	s_barrier
	buffer_gl0_inv
	s_clause 0x2
	global_load_dwordx4 v[16:19], v[14:15], off offset:24
	global_load_dwordx4 v[12:15], v2, s[2:3] offset:24
	global_load_dwordx4 v[20:23], v[0:1], off offset:24
	v_mul_lo_u16 v0, 0x6d, v27
	v_mov_b32_e32 v1, 0x2d83
	v_mad_u16 v8, v31, 45, v33
	v_lshrrev_b16 v0, 8, v0
	v_mul_u32_u24_sdwa v3, v91, v1 dst_sel:DWORD dst_unused:UNUSED_PAD src0_sel:WORD_0 src1_sel:DWORD
	v_mul_u32_u24_sdwa v1, v93, v1 dst_sel:DWORD dst_unused:UNUSED_PAD src0_sel:WORD_0 src1_sel:DWORD
	v_lshlrev_b32_sdwa v88, v35, v8 dst_sel:DWORD dst_unused:UNUSED_PAD src0_sel:DWORD src1_sel:WORD_0
	v_sub_nc_u16 v2, v34, v0
	v_lshrrev_b32_e32 v85, 19, v3
	v_lshrrev_b32_e32 v89, 19, v1
	v_mov_b32_e32 v1, 45
	v_lshrrev_b16 v2, 1, v2
	v_mul_lo_u16 v3, v85, 45
	v_mul_lo_u16 v4, v89, 45
	v_mul_u32_u24_sdwa v1, v29, v1 dst_sel:DWORD dst_unused:UNUSED_PAD src0_sel:WORD_0 src1_sel:DWORD
	v_and_b32_e32 v2, 0x7f, v2
	v_sub_nc_u16 v90, v91, v3
	v_sub_nc_u16 v94, v93, v4
	v_add_lshl_u32 v86, v1, v37, 2
	v_mad_u16 v1, v32, 45, v38
	v_add_nc_u16 v0, v2, v0
	v_lshlrev_b16 v9, 4, v90
	v_lshlrev_b16 v10, 4, v94
	v_mad_u16 v89, 0xe1, v89, v94
	v_lshlrev_b32_sdwa v87, v35, v1 dst_sel:DWORD dst_unused:UNUSED_PAD src0_sel:DWORD src1_sel:WORD_0
	v_lshrrev_b16 v95, 5, v0
	ds_read_b32 v27, v57 offset:7560
	ds_read2_b32 v[0:1], v74 offset0:56 offset1:191
	ds_read2_b32 v[2:3], v78 offset0:70 offset1:205
	;; [unrolled: 1-line block ×4, first 2 shown]
	v_and_b32_e32 v31, 0xffff, v9
	ds_read2_b32 v[8:9], v77 offset0:42 offset1:177
	v_and_b32_e32 v33, 0xffff, v10
	v_mul_lo_u16 v11, v95, 45
	v_add_co_u32 v31, s0, s2, v31
	v_add_co_ci_u32_e64 v32, null, s3, 0, s0
	v_sub_nc_u16 v37, v34, v11
	ds_read2_b32 v[10:11], v75 offset0:84 offset1:219
	ds_read2_b32 v[29:30], v57 offset1:135
	s_waitcnt vmcnt(0) lgkmcnt(0)
	s_barrier
	buffer_gl0_inv
	v_and_b32_e32 v105, 0xff, v37
	v_lshrrev_b32_e32 v37, 16, v27
	v_lshrrev_b32_e32 v38, 16, v0
	v_lshrrev_b32_e32 v106, 16, v2
	v_lshrrev_b32_e32 v44, 16, v4
	v_lshrrev_b32_e32 v39, 16, v3
	v_lshrrev_b32_e32 v40, 16, v5
	v_lshrrev_b32_e32 v46, 16, v9
	v_lshrrev_b32_e32 v42, 16, v7
	v_lshrrev_b32_e32 v43, 16, v1
	v_lshrrev_b32_e32 v45, 16, v8
	v_lshrrev_b32_e32 v41, 16, v6
	v_lshrrev_b32_e32 v108, 16, v11
	v_lshrrev_b32_e32 v107, 16, v10
	v_lshrrev_b32_e32 v109, 16, v30
	v_lshrrev_b32_e32 v110, 16, v29
	v_mul_f16_sdwa v112, v27, v19 dst_sel:DWORD dst_unused:UNUSED_PAD src0_sel:DWORD src1_sel:WORD_1
	v_mul_f16_sdwa v113, v0, v17 dst_sel:DWORD dst_unused:UNUSED_PAD src0_sel:DWORD src1_sel:WORD_1
	;; [unrolled: 1-line block ×20, first 2 shown]
	v_fmac_f16_e32 v112, v37, v19
	v_fmac_f16_e32 v113, v38, v17
	;; [unrolled: 1-line block ×4, first 2 shown]
	v_fma_f16 v4, v4, v20, -v123
	v_fma_f16 v9, v9, v21, -v126
	;; [unrolled: 1-line block ×4, first 2 shown]
	v_mul_f16_sdwa v119, v42, v12 dst_sel:DWORD dst_unused:UNUSED_PAD src0_sel:DWORD src1_sel:WORD_1
	v_mul_f16_sdwa v121, v43, v14 dst_sel:DWORD dst_unused:UNUSED_PAD src0_sel:DWORD src1_sel:WORD_1
	;; [unrolled: 1-line block ×4, first 2 shown]
	v_fma_f16 v27, v27, v19, -v111
	v_fma_f16 v0, v0, v17, -v114
	;; [unrolled: 1-line block ×4, first 2 shown]
	v_fmac_f16_e32 v120, v42, v12
	v_fmac_f16_e32 v127, v45, v13
	;; [unrolled: 1-line block ×8, first 2 shown]
	v_add_f16_e32 v43, v113, v115
	v_add_f16_e32 v44, v117, v112
	v_sub_f16_e32 v46, v113, v117
	v_sub_f16_e32 v106, v115, v112
	v_add_f16_e32 v107, v9, v2
	v_add_f16_e32 v108, v4, v11
	v_fma_f16 v7, v7, v12, -v119
	v_fma_f16 v1, v1, v14, -v121
	;; [unrolled: 1-line block ×4, first 2 shown]
	v_add_f16_e32 v37, v0, v3
	v_add_f16_e32 v38, v5, v27
	v_sub_f16_e32 v40, v0, v5
	v_sub_f16_e32 v42, v3, v27
	v_add_f16_e32 v45, v41, v117
	v_add_f16_e32 v111, v30, v4
	v_sub_f16_e32 v114, v9, v4
	v_sub_f16_e32 v116, v2, v11
	;; [unrolled: 1-line block ×4, first 2 shown]
	v_add_f16_e32 v137, v127, v122
	v_fma_f16 v43, -0.5, v43, v41
	v_fmac_f16_e32 v41, -0.5, v44
	v_sub_f16_e32 v44, v127, v120
	v_add_f16_e32 v46, v46, v106
	v_add_f16_e32 v106, v120, v133
	v_fma_f16 v107, -0.5, v107, v30
	v_fmac_f16_e32 v30, -0.5, v108
	v_sub_f16_e32 v108, v122, v133
	v_add_f16_e32 v118, v128, v130
	v_add_f16_e32 v119, v124, v134
	v_sub_f16_e32 v129, v7, v8
	v_sub_f16_e32 v131, v10, v1
	v_add_f16_e32 v39, v6, v5
	v_sub_f16_e32 v132, v120, v127
	v_sub_f16_e32 v135, v133, v122
	v_add_f16_e32 v136, v110, v120
	v_fma_f16 v37, -0.5, v37, v6
	v_fmac_f16_e32 v6, -0.5, v38
	v_sub_f16_e32 v38, v8, v7
	v_add_f16_e32 v40, v40, v42
	v_sub_f16_e32 v42, v1, v10
	v_add_f16_e32 v114, v114, v116
	;; [unrolled: 2-line block ×3, first 2 shown]
	v_sub_f16_e32 v125, v11, v2
	v_fma_f16 v137, -0.5, v137, v110
	v_fmac_f16_e32 v110, -0.5, v106
	v_sub_f16_e32 v106, v117, v113
	v_add_f16_e32 v44, v44, v108
	v_sub_f16_e32 v108, v112, v115
	v_add_f16_e32 v121, v109, v124
	v_add_f16_e32 v126, v29, v7
	v_fma_f16 v118, -0.5, v118, v109
	v_fmac_f16_e32 v109, -0.5, v119
	v_sub_f16_e32 v119, v124, v128
	v_add_f16_e32 v129, v129, v131
	v_sub_f16_e32 v131, v134, v130
	v_add_f16_e32 v132, v132, v135
	;; [unrolled: 2-line block ×4, first 2 shown]
	v_add_f16_e32 v125, v8, v1
	v_add_f16_e32 v106, v106, v108
	v_sub_f16_e32 v108, v113, v115
	v_add_f16_e32 v45, v45, v113
	v_add_f16_e32 v113, v7, v10
	;; [unrolled: 1-line block ×3, first 2 shown]
	v_sub_f16_e32 v131, v8, v1
	v_add_f16_e32 v8, v126, v8
	v_add_f16_e32 v42, v135, v42
	v_sub_f16_e32 v135, v127, v122
	v_sub_f16_e32 v126, v9, v2
	v_add_f16_e32 v127, v136, v127
	v_sub_f16_e32 v136, v0, v3
	v_add_f16_e32 v9, v111, v9
	v_sub_f16_e32 v120, v120, v133
	v_sub_f16_e32 v7, v7, v10
	v_add_f16_e32 v0, v39, v0
	v_add_f16_e32 v39, v121, v128
	v_fma_f16 v121, -0.5, v125, v29
	v_fma_f16 v29, -0.5, v113, v29
	v_sub_f16_e32 v124, v124, v134
	v_sub_f16_e32 v4, v4, v11
	v_add_f16_e32 v1, v8, v1
	v_sub_f16_e32 v111, v128, v130
	v_sub_f16_e32 v117, v117, v112
	;; [unrolled: 1-line block ×3, first 2 shown]
	v_add_f16_e32 v8, v127, v122
	v_add_f16_e32 v2, v9, v2
	;; [unrolled: 1-line block ×4, first 2 shown]
	v_fmamk_f16 v3, v108, 0xbb9c, v6
	v_fmac_f16_e32 v6, 0x3b9c, v108
	v_add_f16_e32 v39, v45, v115
	v_fmamk_f16 v45, v120, 0x3b9c, v121
	v_fmamk_f16 v113, v135, 0xbb9c, v29
	v_fmac_f16_e32 v29, 0x3b9c, v135
	v_fmamk_f16 v115, v131, 0x3b9c, v110
	v_fmac_f16_e32 v110, 0xbb9c, v131
	v_fmamk_f16 v122, v7, 0xbb9c, v137
	v_fmamk_f16 v125, v136, 0x3b9c, v41
	v_fmac_f16_e32 v41, 0xbb9c, v136
	v_fmac_f16_e32 v121, 0xbb9c, v120
	;; [unrolled: 1-line block ×3, first 2 shown]
	v_add_f16_e32 v1, v1, v10
	v_fmamk_f16 v10, v124, 0x3b9c, v107
	v_fmamk_f16 v130, v4, 0xbb9c, v118
	;; [unrolled: 1-line block ×3, first 2 shown]
	v_fmac_f16_e32 v30, 0x3b9c, v111
	v_fmamk_f16 v128, v126, 0x3b9c, v109
	v_fmac_f16_e32 v109, 0xbb9c, v126
	v_fmac_f16_e32 v107, 0xbb9c, v124
	;; [unrolled: 1-line block ×5, first 2 shown]
	v_fmamk_f16 v120, v117, 0x3b9c, v37
	v_fmac_f16_e32 v115, 0xb8b4, v7
	v_fmac_f16_e32 v110, 0x38b4, v7
	v_fmamk_f16 v7, v5, 0xbb9c, v43
	v_fmac_f16_e32 v37, 0xbb9c, v117
	v_fmac_f16_e32 v43, 0x3b9c, v5
	;; [unrolled: 1-line block ×14, first 2 shown]
	v_add_f16_e32 v8, v8, v133
	v_fmac_f16_e32 v107, 0xb8b4, v111
	v_fmac_f16_e32 v118, 0x38b4, v126
	v_add_f16_e32 v0, v0, v27
	v_add_f16_e32 v4, v39, v112
	v_fmac_f16_e32 v120, 0x38b4, v108
	v_fmac_f16_e32 v7, 0xb8b4, v136
	;; [unrolled: 1-line block ×10, first 2 shown]
	v_add_f16_e32 v2, v2, v11
	v_add_f16_e32 v9, v9, v134
	v_fmac_f16_e32 v113, 0x34f2, v38
	v_fmac_f16_e32 v29, 0x34f2, v38
	v_fmac_f16_e32 v115, 0x34f2, v44
	v_fmac_f16_e32 v110, 0x34f2, v44
	v_fmac_f16_e32 v121, 0x34f2, v129
	v_fmac_f16_e32 v137, 0x34f2, v132
	v_fmac_f16_e32 v10, 0x34f2, v116
	v_fmac_f16_e32 v130, 0x34f2, v119
	v_fmac_f16_e32 v30, 0x34f2, v114
	v_fmac_f16_e32 v109, 0x34f2, v123
	v_fmac_f16_e32 v127, 0x34f2, v114
	v_fmac_f16_e32 v128, 0x34f2, v123
	v_pack_b32_f16 v1, v1, v8
	v_fmac_f16_e32 v107, 0x34f2, v116
	v_fmac_f16_e32 v118, 0x34f2, v119
	v_pack_b32_f16 v0, v0, v4
	v_fmac_f16_e32 v120, 0x34f2, v42
	v_fmac_f16_e32 v7, 0x34f2, v106
	;; [unrolled: 1-line block ×6, first 2 shown]
	v_pack_b32_f16 v4, v6, v41
	v_pack_b32_f16 v6, v45, v122
	;; [unrolled: 1-line block ×13, first 2 shown]
	ds_write2_b32 v86, v1, v6 offset1:9
	ds_write2_b32 v86, v8, v9 offset0:18 offset1:27
	ds_write_b32 v86, v11 offset:144
	ds_write2_b32 v87, v2, v10 offset1:9
	ds_write2_b32 v87, v27, v5 offset0:18 offset1:27
	ds_write_b32 v87, v29 offset:144
	;; [unrolled: 3-line block ×3, first 2 shown]
	v_add_co_u32 v8, s0, s2, v33
	s_waitcnt lgkmcnt(0)
	s_barrier
	buffer_gl0_inv
	global_load_dwordx4 v[4:7], v[31:32], off offset:168
	v_lshlrev_b32_e32 v0, 4, v105
	v_add_co_ci_u32_e64 v9, null, s3, 0, s0
	s_clause 0x1
	global_load_dwordx4 v[0:3], v0, s[2:3] offset:168
	global_load_dwordx4 v[8:11], v[8:9], off offset:168
	ds_read_b32 v106, v57 offset:7560
	ds_read2_b32 v[37:38], v74 offset0:56 offset1:191
	ds_read2_b32 v[39:40], v78 offset0:70 offset1:205
	;; [unrolled: 1-line block ×6, first 2 shown]
	v_mov_b32_e32 v32, 0xe1
	v_mad_u16 v107, 0xe1, v85, v90
	v_add_co_u32 v27, s0, 0xffffffa6, v72
	v_add_co_ci_u32_e64 v29, null, 0, -1, s0
	v_mul_u32_u24_sdwa v95, v95, v32 dst_sel:DWORD dst_unused:UNUSED_PAD src0_sel:WORD_0 src1_sel:DWORD
	ds_read2_b32 v[32:33], v57 offset1:135
	v_cndmask_b32_e32 v27, v27, v93, vcc_lo
	v_cndmask_b32_e32 v28, v29, v28, vcc_lo
	s_waitcnt vmcnt(0) lgkmcnt(0)
	v_add_lshl_u32 v85, v95, v105, 2
	s_barrier
	v_lshrrev_b32_e32 v90, 16, v106
	v_lshrrev_b32_e32 v94, 16, v37
	;; [unrolled: 1-line block ×13, first 2 shown]
	v_lshlrev_b64 v[28:29], 3, v[27:28]
	v_lshrrev_b32_e32 v116, 16, v33
	v_lshrrev_b32_e32 v118, 16, v32
	buffer_gl0_inv
	v_add_co_u32 v28, vcc_lo, s2, v28
	v_add_co_ci_u32_e32 v29, vcc_lo, s3, v29, vcc_lo
	v_cmp_lt_u16_e32 vcc_lo, 0x59, v34
	v_lshlrev_b32_e32 v34, 3, v92
	v_mul_f16_sdwa v122, v94, v5 dst_sel:DWORD dst_unused:UNUSED_PAD src0_sel:DWORD src1_sel:WORD_1
	v_mul_f16_sdwa v119, v90, v7 dst_sel:DWORD dst_unused:UNUSED_PAD src0_sel:DWORD src1_sel:WORD_1
	;; [unrolled: 1-line block ×12, first 2 shown]
	v_fma_f16 v37, v37, v5, -v122
	v_mul_f16_sdwa v122, v115, v11 dst_sel:DWORD dst_unused:UNUSED_PAD src0_sel:DWORD src1_sel:WORD_1
	v_mul_f16_sdwa v128, v38, v2 dst_sel:DWORD dst_unused:UNUSED_PAD src0_sel:DWORD src1_sel:WORD_1
	;; [unrolled: 1-line block ×8, first 2 shown]
	v_fma_f16 v38, v38, v2, -v127
	v_mul_f16_sdwa v127, v45, v3 dst_sel:DWORD dst_unused:UNUSED_PAD src0_sel:DWORD src1_sel:WORD_1
	v_fma_f16 v42, v42, v4, -v126
	v_fma_f16 v41, v41, v8, -v129
	v_mul_f16_sdwa v126, v46, v11 dst_sel:DWORD dst_unused:UNUSED_PAD src0_sel:DWORD src1_sel:WORD_1
	v_mul_f16_sdwa v129, v31, v0 dst_sel:DWORD dst_unused:UNUSED_PAD src0_sel:DWORD src1_sel:WORD_1
	v_fma_f16 v106, v106, v7, -v119
	v_mul_f16_sdwa v119, v117, v0 dst_sel:DWORD dst_unused:UNUSED_PAD src0_sel:DWORD src1_sel:WORD_1
	v_fmac_f16_e32 v120, v90, v7
	v_fmac_f16_e32 v121, v94, v5
	;; [unrolled: 1-line block ×4, first 2 shown]
	v_fma_f16 v40, v40, v6, -v124
	v_fma_f16 v44, v44, v9, -v132
	;; [unrolled: 1-line block ×6, first 2 shown]
	v_fmac_f16_e32 v133, v111, v1
	v_fmac_f16_e32 v128, v109, v2
	;; [unrolled: 1-line block ×8, first 2 shown]
	v_fma_f16 v31, v31, v0, -v119
	v_add_f16_e32 v90, v37, v40
	v_sub_f16_e32 v105, v37, v42
	v_sub_f16_e32 v109, v40, v106
	v_add_f16_e32 v110, v121, v123
	v_add_f16_e32 v111, v125, v120
	v_sub_f16_e32 v113, v121, v125
	v_sub_f16_e32 v114, v123, v120
	v_add_f16_e32 v115, v44, v39
	;; [unrolled: 4-line block ×3, first 2 shown]
	v_add_f16_e32 v112, v108, v125
	v_add_f16_e32 v119, v33, v41
	;; [unrolled: 1-line block ×4, first 2 shown]
	v_sub_f16_e32 v135, v134, v130
	v_fma_f16 v137, -0.5, v90, v30
	v_sub_f16_e32 v90, v136, v126
	v_add_f16_e32 v105, v105, v109
	v_fma_f16 v109, -0.5, v110, v108
	v_fmac_f16_e32 v108, -0.5, v111
	v_sub_f16_e32 v110, v31, v43
	v_add_f16_e32 v111, v113, v114
	v_sub_f16_e32 v113, v45, v38
	v_fma_f16 v114, -0.5, v115, v33
	v_fmac_f16_e32 v33, -0.5, v117
	v_sub_f16_e32 v115, v129, v133
	v_add_f16_e32 v117, v122, v124
	v_sub_f16_e32 v122, v127, v128
	v_add_f16_e32 v95, v30, v42
	v_fmac_f16_e32 v30, -0.5, v94
	v_add_f16_e32 v94, v116, v130
	v_fma_f16 v124, -0.5, v131, v116
	v_fmac_f16_e32 v116, -0.5, v132
	v_sub_f16_e32 v131, v43, v31
	v_add_f16_e32 v132, v135, v90
	v_sub_f16_e32 v90, v38, v45
	v_add_f16_e32 v110, v110, v113
	v_add_f16_e32 v113, v133, v128
	;; [unrolled: 1-line block ×6, first 2 shown]
	v_fma_f16 v113, -0.5, v113, v118
	v_sub_f16_e32 v135, v128, v127
	v_fmac_f16_e32 v118, -0.5, v122
	v_sub_f16_e32 v122, v133, v129
	v_sub_f16_e32 v138, v46, v39
	;; [unrolled: 1-line block ×5, first 2 shown]
	v_add_f16_e32 v122, v122, v135
	v_sub_f16_e32 v135, v41, v44
	v_add_f16_e32 v95, v95, v37
	v_add_f16_e32 v142, v43, v38
	;; [unrolled: 1-line block ×3, first 2 shown]
	v_sub_f16_e32 v133, v133, v128
	v_add_f16_e32 v135, v135, v138
	v_sub_f16_e32 v138, v130, v134
	v_add_f16_e32 v119, v119, v44
	v_add_f16_e32 v90, v90, v128
	;; [unrolled: 1-line block ×3, first 2 shown]
	v_sub_f16_e32 v44, v44, v39
	v_add_f16_e32 v138, v138, v139
	v_sub_f16_e32 v139, v42, v37
	v_sub_f16_e32 v37, v37, v40
	v_add_f16_e32 v40, v95, v40
	v_add_f16_e32 v95, v112, v121
	v_sub_f16_e32 v112, v121, v123
	v_add_f16_e32 v139, v139, v140
	v_sub_f16_e32 v140, v125, v121
	v_add_f16_e32 v121, v31, v45
	v_add_f16_e32 v95, v95, v123
	v_fma_f16 v123, -0.5, v142, v32
	v_add_f16_e32 v90, v90, v127
	v_add_f16_e32 v140, v140, v141
	;; [unrolled: 1-line block ×3, first 2 shown]
	v_sub_f16_e32 v31, v31, v45
	v_add_f16_e32 v39, v119, v39
	v_add_f16_e32 v94, v94, v136
	v_sub_f16_e32 v119, v134, v136
	v_add_f16_e32 v141, v141, v43
	v_sub_f16_e32 v43, v43, v38
	;; [unrolled: 2-line block ×3, first 2 shown]
	v_add_f16_e32 v95, v95, v120
	v_add_f16_e32 v38, v141, v38
	;; [unrolled: 1-line block ×4, first 2 shown]
	v_fma_f16 v45, -0.5, v121, v32
	v_sub_f16_e32 v121, v129, v127
	v_fmamk_f16 v129, v31, 0xbb9c, v113
	v_fmac_f16_e32 v113, 0x3b9c, v31
	v_sub_f16_e32 v32, v130, v126
	v_fmamk_f16 v127, v133, 0xbb9c, v45
	v_fmac_f16_e32 v45, 0x3b9c, v133
	v_fmamk_f16 v128, v121, 0x3b9c, v123
	v_fmac_f16_e32 v123, 0xbb9c, v121
	v_fmac_f16_e32 v129, 0xb8b4, v43
	;; [unrolled: 1-line block ×4, first 2 shown]
	v_fmamk_f16 v121, v43, 0x3b9c, v118
	v_fmac_f16_e32 v118, 0xbb9c, v43
	v_fmac_f16_e32 v113, 0x38b4, v43
	v_fmamk_f16 v43, v32, 0x3b9c, v114
	v_fmac_f16_e32 v114, 0xbb9c, v32
	v_fmac_f16_e32 v121, 0xb8b4, v31
	;; [unrolled: 1-line block ×3, first 2 shown]
	v_sub_f16_e32 v31, v41, v46
	v_add_f16_e32 v46, v94, v126
	v_fmamk_f16 v126, v44, 0x3b9c, v116
	v_fmac_f16_e32 v116, 0xbb9c, v44
	v_fmamk_f16 v41, v119, 0xbb9c, v33
	v_fmac_f16_e32 v33, 0x3b9c, v119
	;; [unrolled: 2-line block ×3, first 2 shown]
	v_fmac_f16_e32 v116, 0x38b4, v31
	v_fmac_f16_e32 v126, 0xb8b4, v31
	v_mov_b32_e32 v31, 0x91a3
	v_fmac_f16_e32 v33, 0xb8b4, v32
	v_fmac_f16_e32 v41, 0x38b4, v32
	v_fmac_f16_e32 v43, 0x38b4, v119
	v_fmac_f16_e32 v114, 0xb8b4, v119
	v_mul_u32_u24_sdwa v32, v92, v31 dst_sel:DWORD dst_unused:UNUSED_PAD src0_sel:WORD_0 src1_sel:DWORD
	v_mul_u32_u24_sdwa v31, v36, v31 dst_sel:DWORD dst_unused:UNUSED_PAD src0_sel:WORD_0 src1_sel:DWORD
	v_fmamk_f16 v119, v37, 0x3b9c, v108
	v_fmac_f16_e32 v108, 0xbb9c, v37
	v_fmac_f16_e32 v130, 0xb8b4, v44
	v_lshrrev_b32_e32 v94, 23, v32
	v_lshrrev_b32_e32 v32, 23, v31
	v_fmac_f16_e32 v124, 0x38b4, v44
	v_fmamk_f16 v44, v112, 0xbb9c, v30
	v_fmac_f16_e32 v30, 0x3b9c, v112
	v_mul_lo_u16 v31, 0xe1, v94
	v_sub_f16_e32 v94, v125, v120
	v_fmamk_f16 v120, v42, 0xbb9c, v109
	v_fmac_f16_e32 v109, 0x3b9c, v42
	v_fmac_f16_e32 v108, 0x38b4, v42
	;; [unrolled: 1-line block ×3, first 2 shown]
	v_mul_lo_u16 v42, 0xe1, v32
	v_sub_nc_u16 v31, v92, v31
	v_fmac_f16_e32 v128, 0x38b4, v133
	v_fmamk_f16 v106, v94, 0x3b9c, v137
	v_fmac_f16_e32 v137, 0xbb9c, v94
	v_fmac_f16_e32 v30, 0xb8b4, v94
	v_fmac_f16_e32 v44, 0x38b4, v94
	v_sub_nc_u16 v94, v36, v42
	v_fmac_f16_e32 v123, 0xb8b4, v133
	v_lshlrev_b16 v42, 3, v31
	v_fmac_f16_e32 v106, 0x38b4, v112
	v_fmac_f16_e32 v137, 0xb8b4, v112
	;; [unrolled: 1-line block ×4, first 2 shown]
	v_lshlrev_b16 v37, 3, v94
	v_fmac_f16_e32 v128, 0x34f2, v110
	v_fmac_f16_e32 v129, 0x34f2, v115
	;; [unrolled: 1-line block ×6, first 2 shown]
	v_pack_b32_f16 v112, v38, v90
	v_and_b32_e32 v38, 0xffff, v42
	v_fmac_f16_e32 v123, 0x34f2, v110
	v_fmac_f16_e32 v113, 0x34f2, v115
	v_fmac_f16_e32 v43, 0x34f2, v135
	v_fmac_f16_e32 v130, 0x34f2, v138
	v_fmac_f16_e32 v33, 0x34f2, v117
	v_fmac_f16_e32 v41, 0x34f2, v117
	v_fmac_f16_e32 v116, 0x34f2, v132
	v_fmac_f16_e32 v126, 0x34f2, v132
	v_and_b32_e32 v42, 0xffff, v37
	v_pack_b32_f16 v39, v39, v46
	v_fmac_f16_e32 v114, 0x34f2, v135
	v_fmac_f16_e32 v30, 0x34f2, v105
	v_fmac_f16_e32 v108, 0x34f2, v111
	v_fmac_f16_e32 v124, 0x34f2, v138
	v_fmac_f16_e32 v106, 0x34f2, v139
	v_fmac_f16_e32 v120, 0x34f2, v140
	v_fmac_f16_e32 v44, 0x34f2, v105
	v_fmac_f16_e32 v119, 0x34f2, v111
	v_fmac_f16_e32 v137, 0x34f2, v139
	v_fmac_f16_e32 v109, 0x34f2, v140
	v_pack_b32_f16 v46, v128, v129
	v_pack_b32_f16 v40, v40, v95
	;; [unrolled: 1-line block ×4, first 2 shown]
	v_add_co_u32 v37, s0, s2, v38
	v_pack_b32_f16 v105, v123, v113
	v_lshlrev_b32_sdwa v90, v35, v89 dst_sel:DWORD dst_unused:UNUSED_PAD src0_sel:DWORD src1_sel:WORD_0
	v_pack_b32_f16 v43, v43, v130
	v_add_co_ci_u32_e64 v38, null, s3, 0, s0
	v_pack_b32_f16 v33, v33, v116
	v_pack_b32_f16 v41, v41, v126
	v_lshlrev_b32_e32 v125, 3, v72
	v_lshlrev_b32_sdwa v89, v35, v107 dst_sel:DWORD dst_unused:UNUSED_PAD src0_sel:DWORD src1_sel:WORD_0
	v_pack_b32_f16 v30, v30, v108
	v_pack_b32_f16 v107, v114, v124
	;; [unrolled: 1-line block ×5, first 2 shown]
	ds_write2_b32 v85, v112, v46 offset1:45
	ds_write2_b32 v85, v95, v45 offset0:90 offset1:135
	ds_write_b32 v85, v105 offset:720
	ds_write2_b32 v90, v39, v43 offset1:45
	ds_write2_b32 v90, v41, v33 offset0:90 offset1:135
	ds_write_b32 v90, v107 offset:720
	;; [unrolled: 3-line block ×3, first 2 shown]
	v_add_co_u32 v43, s0, s2, v42
	v_add_co_ci_u32_e64 v44, null, s3, 0, s0
	s_waitcnt lgkmcnt(0)
	s_barrier
	buffer_gl0_inv
	s_clause 0x4
	global_load_dwordx2 v[37:38], v[37:38], off offset:888
	global_load_dwordx2 v[39:40], v125, s[2:3] offset:888
	global_load_dwordx2 v[41:42], v[28:29], off offset:888
	global_load_dwordx2 v[45:46], v[43:44], off offset:888
	global_load_dwordx2 v[43:44], v125, s[2:3] offset:1248
	v_lshlrev_b32_e32 v33, 3, v93
	v_cndmask_b32_e64 v28, 0, 0x2a3, vcc_lo
	v_add_co_u32 v29, s0, s2, v125
	v_add_co_ci_u32_e64 v30, null, s3, 0, s0
	v_add_co_u32 v93, s0, s2, v33
	v_lshlrev_b32_e32 v92, 3, v91
	v_add_lshl_u32 v91, v27, v28, 2
	v_add_co_ci_u32_e64 v95, null, s3, 0, s0
	v_add_co_u32 v113, s0, s2, v34
	ds_read_b32 v119, v57 offset:7560
	ds_read2_b32 v[27:28], v74 offset0:56 offset1:191
	ds_read2_b32 v[33:34], v78 offset0:70 offset1:205
	;; [unrolled: 1-line block ×5, first 2 shown]
	v_add_co_u32 v29, vcc_lo, 0x800, v29
	v_add_co_ci_u32_e32 v30, vcc_lo, 0, v30, vcc_lo
	v_add_co_ci_u32_e64 v114, null, s3, 0, s0
	v_add_co_u32 v105, vcc_lo, 0x800, v93
	v_add_co_u32 v92, s0, s2, v92
	v_mad_u16 v32, 0x2a3, v32, v94
	v_add_co_ci_u32_e32 v106, vcc_lo, 0, v95, vcc_lo
	v_add_co_u32 v113, vcc_lo, 0x800, v113
	v_add_co_ci_u32_e32 v114, vcc_lo, 0, v114, vcc_lo
	s_waitcnt lgkmcnt(4)
	v_lshrrev_b32_e32 v94, 16, v28
	s_waitcnt lgkmcnt(2)
	v_lshrrev_b32_e32 v121, 16, v107
	v_lshrrev_b32_e32 v123, 16, v27
	v_add_co_u32 v115, vcc_lo, 0x800, v92
	v_lshlrev_b32_sdwa v92, v35, v31 dst_sel:DWORD dst_unused:UNUSED_PAD src0_sel:DWORD src1_sel:WORD_0
	v_lshlrev_b32_sdwa v93, v35, v32 dst_sel:DWORD dst_unused:UNUSED_PAD src0_sel:DWORD src1_sel:WORD_0
	ds_read2_b32 v[31:32], v57 offset1:135
	ds_read2_b32 v[117:118], v76 offset0:14 offset1:149
	v_lshrrev_b32_e32 v35, 16, v119
	v_lshrrev_b32_e32 v95, 16, v33
	;; [unrolled: 1-line block ×4, first 2 shown]
	s_waitcnt lgkmcnt(3)
	v_lshrrev_b32_e32 v124, 16, v109
	v_lshrrev_b32_e32 v125, 16, v110
	s_waitcnt lgkmcnt(2)
	v_lshrrev_b32_e32 v127, 16, v112
	v_lshrrev_b32_e32 v126, 16, v111
	v_lshlrev_b32_e32 v36, 3, v36
	v_add_co_ci_u32_e64 v116, null, s3, 0, s0
	s_waitcnt vmcnt(0) lgkmcnt(0)
	s_barrier
	v_add_co_u32 v36, s0, s2, v36
	v_add_co_ci_u32_e32 v116, vcc_lo, 0, v116, vcc_lo
	buffer_gl0_inv
	s_mul_i32 s2, s17, 0xa8c
	s_add_i32 s15, s15, s2
	v_mul_f16_sdwa v130, v95, v40 dst_sel:DWORD dst_unused:UNUSED_PAD src0_sel:DWORD src1_sel:WORD_1
	v_mul_f16_sdwa v135, v121, v41 dst_sel:DWORD dst_unused:UNUSED_PAD src0_sel:DWORD src1_sel:WORD_1
	;; [unrolled: 1-line block ×10, first 2 shown]
	v_fma_f16 v107, v107, v41, -v135
	v_mul_f16_sdwa v135, v27, v45 dst_sel:DWORD dst_unused:UNUSED_PAD src0_sel:DWORD src1_sel:WORD_1
	v_fma_f16 v28, v28, v37, -v129
	v_fma_f16 v27, v27, v45, -v138
	v_mul_f16_sdwa v129, v35, v38 dst_sel:DWORD dst_unused:UNUSED_PAD src0_sel:DWORD src1_sel:WORD_1
	v_mul_f16_sdwa v138, v119, v38 dst_sel:DWORD dst_unused:UNUSED_PAD src0_sel:DWORD src1_sel:WORD_1
	;; [unrolled: 1-line block ×3, first 2 shown]
	v_fma_f16 v33, v33, v40, -v130
	v_fma_f16 v34, v34, v42, -v131
	v_mul_f16_sdwa v130, v124, v44 dst_sel:DWORD dst_unused:UNUSED_PAD src0_sel:DWORD src1_sel:WORD_1
	v_mul_f16_sdwa v131, v125, v46 dst_sel:DWORD dst_unused:UNUSED_PAD src0_sel:DWORD src1_sel:WORD_1
	v_fma_f16 v108, v108, v43, -v136
	v_mul_f16_sdwa v136, v109, v44 dst_sel:DWORD dst_unused:UNUSED_PAD src0_sel:DWORD src1_sel:WORD_1
	v_fma_f16 v119, v119, v38, -v129
	v_fmac_f16_e32 v138, v35, v38
	v_fmac_f16_e32 v128, v94, v37
	v_mul_f16_sdwa v94, v112, v39 dst_sel:DWORD dst_unused:UNUSED_PAD src0_sel:DWORD src1_sel:WORD_1
	v_fmac_f16_e32 v132, v95, v40
	v_mul_f16_sdwa v95, v127, v39 dst_sel:DWORD dst_unused:UNUSED_PAD src0_sel:DWORD src1_sel:WORD_1
	v_fmac_f16_e32 v133, v120, v42
	v_fmac_f16_e32 v134, v121, v41
	v_fma_f16 v109, v109, v44, -v130
	v_fma_f16 v130, v110, v46, -v131
	v_lshrrev_b32_e32 v131, 16, v32
	v_lshrrev_b32_e32 v129, 16, v31
	v_fmac_f16_e32 v136, v124, v44
	v_fmac_f16_e32 v94, v127, v39
	v_fma_f16 v95, v112, v39, -v95
	v_add_f16_e32 v112, v28, v119
	v_add_f16_e32 v121, v128, v138
	;; [unrolled: 1-line block ×3, first 2 shown]
	v_mul_f16_sdwa v110, v110, v46 dst_sel:DWORD dst_unused:UNUSED_PAD src0_sel:DWORD src1_sel:WORD_1
	v_fmac_f16_e32 v137, v122, v43
	v_fmac_f16_e32 v135, v123, v45
	v_add_f16_e32 v120, v111, v28
	v_add_f16_e32 v122, v126, v128
	;; [unrolled: 1-line block ×3, first 2 shown]
	v_fmac_f16_e32 v111, -0.5, v112
	v_add_f16_e32 v112, v131, v134
	v_fmac_f16_e32 v126, -0.5, v121
	v_add_f16_e32 v121, v129, v94
	v_fmac_f16_e32 v131, -0.5, v124
	v_add_f16_e32 v124, v31, v95
	v_fmac_f16_e32 v110, v125, v46
	v_add_f16_e32 v125, v32, v107
	v_fmac_f16_e32 v32, -0.5, v123
	v_add_f16_e32 v123, v94, v132
	v_sub_f16_e32 v127, v94, v132
	v_add_f16_e32 v121, v121, v132
	v_add_f16_e32 v132, v95, v33
	v_sub_f16_e32 v139, v95, v33
	v_add_f16_e32 v33, v124, v33
	v_lshrrev_b32_e32 v124, 16, v117
	v_add_f16_e32 v94, v27, v130
	v_lshrrev_b32_e32 v35, 16, v118
	v_fmac_f16_e32 v129, -0.5, v123
	v_add_f16_e32 v95, v135, v110
	v_add_f16_e32 v123, v118, v27
	v_fmac_f16_e32 v118, -0.5, v94
	v_add_f16_e32 v94, v124, v137
	v_sub_f16_e32 v107, v107, v34
	v_sub_f16_e32 v134, v134, v133
	v_add_f16_e32 v34, v125, v34
	v_add_f16_e32 v112, v112, v133
	;; [unrolled: 1-line block ×3, first 2 shown]
	v_fmac_f16_e32 v35, -0.5, v95
	v_add_f16_e32 v95, v137, v136
	v_sub_f16_e32 v133, v137, v136
	v_add_f16_e32 v136, v94, v136
	v_add_f16_e32 v94, v117, v108
	;; [unrolled: 1-line block ×3, first 2 shown]
	v_fma_f16 v31, -0.5, v132, v31
	v_sub_f16_e32 v28, v28, v119
	v_add_f16_e32 v119, v120, v119
	v_sub_f16_e32 v120, v128, v138
	v_sub_f16_e32 v108, v108, v109
	v_add_f16_e32 v109, v94, v109
	v_fmac_f16_e32 v124, -0.5, v95
	v_sub_f16_e32 v27, v27, v130
	v_add_f16_e32 v123, v123, v130
	v_sub_f16_e32 v130, v135, v110
	v_fma_f16 v117, -0.5, v137, v117
	v_fmamk_f16 v132, v107, 0xbaee, v131
	v_fmac_f16_e32 v131, 0x3aee, v107
	v_pack_b32_f16 v33, v33, v121
	v_fmamk_f16 v107, v127, 0x3aee, v31
	v_fmamk_f16 v121, v139, 0xbaee, v129
	v_fmac_f16_e32 v31, 0xbaee, v127
	v_fmac_f16_e32 v129, 0x3aee, v139
	v_fmamk_f16 v128, v120, 0x3aee, v111
	v_fmac_f16_e32 v111, 0xbaee, v120
	v_fmamk_f16 v120, v28, 0xbaee, v126
	;; [unrolled: 2-line block ×3, first 2 shown]
	v_fmac_f16_e32 v32, 0xbaee, v134
	v_pack_b32_f16 v34, v34, v112
	v_fmamk_f16 v112, v130, 0x3aee, v118
	v_fmac_f16_e32 v118, 0xbaee, v130
	v_fmamk_f16 v127, v27, 0xbaee, v35
	v_fmac_f16_e32 v35, 0x3aee, v27
	v_pack_b32_f16 v27, v109, v136
	v_fmamk_f16 v109, v133, 0x3aee, v117
	v_fmamk_f16 v130, v108, 0xbaee, v124
	v_add_f16_e32 v110, v125, v110
	v_add_f16_e32 v122, v122, v138
	v_fmac_f16_e32 v117, 0xbaee, v133
	v_fmac_f16_e32 v124, 0x3aee, v108
	v_pack_b32_f16 v107, v107, v121
	v_pack_b32_f16 v31, v31, v129
	v_add_co_ci_u32_e64 v125, null, s3, 0, s0
	v_pack_b32_f16 v28, v28, v132
	v_pack_b32_f16 v32, v32, v131
	v_add_nc_u32_e32 v94, 0xb00, v57
	v_pack_b32_f16 v35, v118, v35
	v_pack_b32_f16 v109, v109, v130
	v_add_nc_u32_e32 v95, 0x1500, v92
	v_pack_b32_f16 v108, v123, v110
	v_pack_b32_f16 v110, v119, v122
	;; [unrolled: 1-line block ×6, first 2 shown]
	ds_write2_b32 v57, v33, v107 offset1:225
	ds_write_b32 v57, v31 offset:1800
	ds_write2_b32 v91, v34, v28 offset1:225
	ds_write_b32 v91, v32 offset:1800
	ds_write2_b32 v94, v27, v109 offset0:16 offset1:241
	ds_write_b32 v57, v117 offset:4680
	ds_write2_b32 v93, v108, v112 offset1:225
	ds_write_b32 v93, v35 offset:1800
	ds_write2_b32 v95, v110, v118 offset0:6 offset1:231
	ds_write_b32 v92, v111 offset:7200
	v_add_co_u32 v35, vcc_lo, 0x800, v36
	v_add_co_ci_u32_e32 v36, vcc_lo, 0, v125, vcc_lo
	s_waitcnt lgkmcnt(0)
	s_barrier
	buffer_gl0_inv
	s_clause 0x4
	global_load_dwordx2 v[27:28], v[113:114], off offset:640
	global_load_dwordx2 v[29:30], v[29:30], off offset:640
	global_load_dwordx2 v[31:32], v[105:106], off offset:640
	global_load_dwordx2 v[33:34], v[115:116], off offset:640
	global_load_dwordx2 v[35:36], v[35:36], off offset:640
	ds_read_b32 v117, v57 offset:7560
	ds_read2_b32 v[105:106], v74 offset0:56 offset1:191
	ds_read2_b32 v[107:108], v78 offset0:70 offset1:205
	;; [unrolled: 1-line block ×5, first 2 shown]
	ds_read2_b32 v[115:116], v57 offset1:135
	s_load_dwordx2 s[0:1], s[4:5], 0x38
	s_waitcnt lgkmcnt(0)
	v_lshrrev_b32_e32 v118, 16, v117
	v_lshrrev_b32_e32 v124, 16, v105
	;; [unrolled: 1-line block ×10, first 2 shown]
	s_waitcnt vmcnt(4)
	v_mul_f16_sdwa v129, v117, v28 dst_sel:DWORD dst_unused:UNUSED_PAD src0_sel:DWORD src1_sel:WORD_1
	v_mul_f16_sdwa v130, v119, v27 dst_sel:DWORD dst_unused:UNUSED_PAD src0_sel:DWORD src1_sel:WORD_1
	s_waitcnt vmcnt(2)
	v_mul_f16_sdwa v132, v121, v32 dst_sel:DWORD dst_unused:UNUSED_PAD src0_sel:DWORD src1_sel:WORD_1
	s_waitcnt vmcnt(0)
	v_mul_f16_sdwa v138, v124, v35 dst_sel:DWORD dst_unused:UNUSED_PAD src0_sel:DWORD src1_sel:WORD_1
	v_mul_f16_sdwa v134, v108, v32 dst_sel:DWORD dst_unused:UNUSED_PAD src0_sel:DWORD src1_sel:WORD_1
	;; [unrolled: 1-line block ×4, first 2 shown]
	v_fma_f16 v108, v108, v32, -v132
	v_mul_f16_sdwa v132, v106, v27 dst_sel:DWORD dst_unused:UNUSED_PAD src0_sel:DWORD src1_sel:WORD_1
	v_fma_f16 v138, v105, v35, -v138
	v_lshrrev_b32_e32 v105, 16, v114
	v_mul_f16_sdwa v128, v118, v28 dst_sel:DWORD dst_unused:UNUSED_PAD src0_sel:DWORD src1_sel:WORD_1
	v_mul_f16_sdwa v131, v120, v30 dst_sel:DWORD dst_unused:UNUSED_PAD src0_sel:DWORD src1_sel:WORD_1
	;; [unrolled: 1-line block ×4, first 2 shown]
	v_fma_f16 v109, v109, v31, -v135
	v_fma_f16 v130, v106, v27, -v130
	v_fmac_f16_e32 v129, v118, v28
	v_fmac_f16_e32 v132, v119, v27
	v_mul_f16_sdwa v106, v114, v29 dst_sel:DWORD dst_unused:UNUSED_PAD src0_sel:DWORD src1_sel:WORD_1
	v_mul_f16_sdwa v119, v105, v29 dst_sel:DWORD dst_unused:UNUSED_PAD src0_sel:DWORD src1_sel:WORD_1
	v_fma_f16 v107, v107, v30, -v131
	v_mul_f16_sdwa v131, v110, v33 dst_sel:DWORD dst_unused:UNUSED_PAD src0_sel:DWORD src1_sel:WORD_1
	v_mul_f16_sdwa v140, v111, v34 dst_sel:DWORD dst_unused:UNUSED_PAD src0_sel:DWORD src1_sel:WORD_1
	v_fma_f16 v117, v117, v28, -v128
	v_fmac_f16_e32 v133, v120, v30
	v_fmac_f16_e32 v134, v121, v32
	;; [unrolled: 1-line block ×4, first 2 shown]
	v_fma_f16 v105, v114, v29, -v119
	v_add_f16_e32 v120, v132, v129
	v_add_f16_e32 v122, v109, v108
	v_mul_f16_sdwa v136, v123, v33 dst_sel:DWORD dst_unused:UNUSED_PAD src0_sel:DWORD src1_sel:WORD_1
	v_mul_f16_sdwa v135, v125, v34 dst_sel:DWORD dst_unused:UNUSED_PAD src0_sel:DWORD src1_sel:WORD_1
	v_lshrrev_b32_e32 v128, 16, v116
	v_lshrrev_b32_e32 v118, 16, v115
	v_fmac_f16_e32 v131, v123, v33
	v_fmac_f16_e32 v140, v125, v34
	;; [unrolled: 1-line block ×3, first 2 shown]
	v_add_f16_e32 v114, v130, v117
	v_add_f16_e32 v121, v127, v132
	;; [unrolled: 1-line block ×4, first 2 shown]
	v_fmac_f16_e32 v127, -0.5, v120
	v_add_f16_e32 v120, v115, v105
	v_fmac_f16_e32 v116, -0.5, v122
	v_add_f16_e32 v122, v105, v107
	v_sub_f16_e32 v125, v105, v107
	v_add_f16_e32 v105, v106, v133
	v_add_f16_e32 v119, v113, v130
	v_fmac_f16_e32 v113, -0.5, v114
	v_add_f16_e32 v114, v128, v137
	v_fmac_f16_e32 v128, -0.5, v124
	v_add_f16_e32 v107, v120, v107
	v_add_f16_e32 v120, v118, v106
	v_sub_f16_e32 v124, v106, v133
	v_fmac_f16_e32 v118, -0.5, v105
	ds_read2_b32 v[105:106], v76 offset0:14 offset1:149
	v_fma_f16 v110, v110, v33, -v136
	v_mul_f16_sdwa v136, v126, v36 dst_sel:DWORD dst_unused:UNUSED_PAD src0_sel:DWORD src1_sel:WORD_1
	v_fma_f16 v111, v111, v34, -v135
	v_sub_f16_e32 v109, v109, v108
	v_add_f16_e32 v108, v123, v108
	v_add_f16_e32 v120, v120, v133
	v_fma_f16 v135, v112, v36, -v136
	v_mul_f16_sdwa v112, v112, v36 dst_sel:DWORD dst_unused:UNUSED_PAD src0_sel:DWORD src1_sel:WORD_1
	v_add_f16_e32 v114, v114, v134
	v_add_f16_e32 v142, v110, v111
	v_fma_f16 v115, -0.5, v122, v115
	v_add_f16_e32 v123, v138, v135
	v_fmac_f16_e32 v112, v126, v36
	v_sub_f16_e32 v126, v137, v134
	v_add_f16_e32 v137, v131, v140
	v_sub_f16_e32 v130, v130, v117
	v_add_f16_e32 v117, v119, v117
	;; [unrolled: 2-line block ×3, first 2 shown]
	s_waitcnt lgkmcnt(0)
	v_lshrrev_b32_e32 v133, 16, v106
	v_add_f16_e32 v134, v106, v138
	v_fmac_f16_e32 v106, -0.5, v123
	v_add_f16_e32 v123, v139, v112
	v_sub_f16_e32 v138, v138, v135
	v_add_f16_e32 v136, v133, v139
	v_add_f16_e32 v134, v134, v135
	v_sub_f16_e32 v135, v139, v112
	v_fmac_f16_e32 v133, -0.5, v123
	v_lshrrev_b32_e32 v123, 16, v105
	v_fmamk_f16 v129, v126, 0x3aee, v116
	v_fmac_f16_e32 v116, 0xbaee, v126
	v_fmamk_f16 v126, v109, 0xbaee, v128
	v_fmac_f16_e32 v128, 0x3aee, v109
	v_add_f16_e32 v141, v123, v131
	v_fmac_f16_e32 v123, -0.5, v137
	v_add_f16_e32 v137, v105, v110
	v_sub_f16_e32 v110, v110, v111
	v_sub_f16_e32 v131, v131, v140
	v_fma_f16 v105, -0.5, v142, v105
	v_fmamk_f16 v109, v124, 0x3aee, v115
	v_fmac_f16_e32 v115, 0xbaee, v124
	v_fmamk_f16 v124, v125, 0xbaee, v118
	v_fmac_f16_e32 v118, 0x3aee, v125
	v_add_f16_e32 v111, v137, v111
	v_add_f16_e32 v137, v141, v140
	;; [unrolled: 1-line block ×3, first 2 shown]
	v_fmamk_f16 v122, v119, 0x3aee, v113
	v_fmac_f16_e32 v113, 0xbaee, v119
	v_fmamk_f16 v119, v130, 0xbaee, v127
	v_fmac_f16_e32 v127, 0x3aee, v130
	v_fmamk_f16 v125, v131, 0x3aee, v105
	v_fmamk_f16 v130, v110, 0xbaee, v123
	v_fmac_f16_e32 v105, 0xbaee, v131
	v_fmac_f16_e32 v123, 0x3aee, v110
	v_pack_b32_f16 v107, v107, v120
	v_pack_b32_f16 v108, v108, v114
	v_fmamk_f16 v114, v135, 0x3aee, v106
	v_fmac_f16_e32 v106, 0xbaee, v135
	v_fmamk_f16 v120, v138, 0xbaee, v133
	v_fmac_f16_e32 v133, 0x3aee, v138
	v_pack_b32_f16 v109, v109, v124
	v_pack_b32_f16 v115, v115, v118
	;; [unrolled: 1-line block ×13, first 2 shown]
	ds_write_b32 v57, v109 offset:2700
	ds_write_b32 v57, v115 offset:5400
	ds_write2_b32 v57, v107, v108 offset1:135
	ds_write2_b32 v77, v117, v118 offset0:42 offset1:177
	ds_write2_b32 v81, v116, v105 offset0:77 offset1:212
	;; [unrolled: 1-line block ×5, first 2 shown]
	ds_write_b32 v57, v112 offset:2160
	s_waitcnt lgkmcnt(0)
	s_barrier
	buffer_gl0_inv
	global_load_dword v109, v[25:26], off offset:1956
	v_add_co_u32 v25, vcc_lo, 0x1fa4, v82
	v_add_co_ci_u32_e32 v26, vcc_lo, 0, v83, vcc_lo
	v_add_co_u32 v105, vcc_lo, 0x3800, v82
	v_add_co_ci_u32_e32 v106, vcc_lo, 0, v83, vcc_lo
	s_clause 0x1
	global_load_dword v110, v[25:26], off offset:540
	global_load_dword v111, v[105:106], off offset:1324
	v_add_co_u32 v107, vcc_lo, 0x2800, v82
	v_add_co_ci_u32_e32 v108, vcc_lo, 0, v83, vcc_lo
	s_clause 0x3
	global_load_dword v113, v[107:108], off offset:1100
	global_load_dword v114, v[107:108], off offset:1640
	global_load_dword v115, v[25:26], off offset:1080
	global_load_dword v116, v[25:26], off offset:1620
	v_add_co_u32 v25, vcc_lo, 0x3000, v82
	v_add_co_ci_u32_e32 v26, vcc_lo, 0, v83, vcc_lo
	s_clause 0x7
	global_load_dword v117, v[107:108], off offset:560
	global_load_dword v118, v[107:108], off offset:20
	;; [unrolled: 1-line block ×8, first 2 shown]
	ds_read2_b32 v[25:26], v57 offset1:135
	ds_read_b32 v107, v57 offset:7560
	v_add_nc_u32_e32 v125, 0xa00, v57
	v_add_nc_u32_e32 v128, 0x200, v57
	;; [unrolled: 1-line block ×3, first 2 shown]
	s_waitcnt lgkmcnt(1)
	v_lshrrev_b32_e32 v82, 16, v25
	v_lshrrev_b32_e32 v108, 16, v26
	s_waitcnt vmcnt(14)
	v_mul_f16_sdwa v83, v25, v109 dst_sel:DWORD dst_unused:UNUSED_PAD src0_sel:DWORD src1_sel:WORD_1
	v_mul_f16_sdwa v105, v82, v109 dst_sel:DWORD dst_unused:UNUSED_PAD src0_sel:DWORD src1_sel:WORD_1
	v_fmac_f16_e32 v83, v82, v109
	v_fma_f16 v25, v25, v109, -v105
	s_waitcnt lgkmcnt(0)
	v_lshrrev_b32_e32 v109, 16, v107
	s_waitcnt vmcnt(13)
	v_mul_f16_sdwa v112, v26, v110 dst_sel:DWORD dst_unused:UNUSED_PAD src0_sel:DWORD src1_sel:WORD_1
	v_pack_b32_f16 v25, v25, v83
	s_waitcnt vmcnt(12)
	v_mul_f16_sdwa v126, v109, v111 dst_sel:DWORD dst_unused:UNUSED_PAD src0_sel:DWORD src1_sel:WORD_1
	v_mul_f16_sdwa v127, v107, v111 dst_sel:DWORD dst_unused:UNUSED_PAD src0_sel:DWORD src1_sel:WORD_1
	v_fmac_f16_e32 v112, v108, v110
	ds_write_b32 v57, v25
	ds_read2_b32 v[82:83], v77 offset0:42 offset1:177
	ds_read2_b32 v[105:106], v76 offset0:14 offset1:149
	v_mul_f16_sdwa v25, v108, v110 dst_sel:DWORD dst_unused:UNUSED_PAD src0_sel:DWORD src1_sel:WORD_1
	v_fma_f16 v107, v107, v111, -v126
	v_fmac_f16_e32 v127, v109, v111
	v_add_nc_u32_e32 v126, 0xe00, v57
	v_fma_f16 v129, v26, v110, -v25
	ds_read2_b32 v[25:26], v79 offset0:28 offset1:163
	v_pack_b32_f16 v127, v107, v127
	v_pack_b32_f16 v129, v129, v112
	ds_read2_b32 v[107:108], v74 offset0:56 offset1:191
	ds_read2_b32 v[109:110], v78 offset0:70 offset1:205
	;; [unrolled: 1-line block ×3, first 2 shown]
	s_waitcnt lgkmcnt(5)
	v_lshrrev_b32_e32 v131, 16, v82
	s_waitcnt vmcnt(11)
	v_mul_f16_sdwa v132, v82, v113 dst_sel:DWORD dst_unused:UNUSED_PAD src0_sel:DWORD src1_sel:WORD_1
	v_lshrrev_b32_e32 v134, 16, v83
	s_waitcnt lgkmcnt(4)
	v_lshrrev_b32_e32 v133, 16, v105
	s_waitcnt vmcnt(10)
	v_mul_f16_sdwa v135, v83, v114 dst_sel:DWORD dst_unused:UNUSED_PAD src0_sel:DWORD src1_sel:WORD_1
	s_waitcnt vmcnt(9)
	v_mul_f16_sdwa v136, v105, v115 dst_sel:DWORD dst_unused:UNUSED_PAD src0_sel:DWORD src1_sel:WORD_1
	v_lshrrev_b32_e32 v137, 16, v106
	v_mul_f16_sdwa v138, v131, v113 dst_sel:DWORD dst_unused:UNUSED_PAD src0_sel:DWORD src1_sel:WORD_1
	v_fmac_f16_e32 v132, v131, v113
	v_mul_f16_sdwa v131, v134, v114 dst_sel:DWORD dst_unused:UNUSED_PAD src0_sel:DWORD src1_sel:WORD_1
	v_fmac_f16_e32 v135, v134, v114
	s_waitcnt vmcnt(8)
	v_mul_f16_sdwa v134, v106, v116 dst_sel:DWORD dst_unused:UNUSED_PAD src0_sel:DWORD src1_sel:WORD_1
	v_fma_f16 v82, v82, v113, -v138
	s_waitcnt lgkmcnt(3)
	v_lshrrev_b32_e32 v113, 16, v26
	v_fma_f16 v83, v83, v114, -v131
	v_mul_f16_sdwa v114, v133, v115 dst_sel:DWORD dst_unused:UNUSED_PAD src0_sel:DWORD src1_sel:WORD_1
	v_lshrrev_b32_e32 v131, 16, v25
	v_mul_f16_sdwa v138, v137, v116 dst_sel:DWORD dst_unused:UNUSED_PAD src0_sel:DWORD src1_sel:WORD_1
	v_fmac_f16_e32 v136, v133, v115
	s_waitcnt vmcnt(7)
	v_mul_f16_sdwa v133, v26, v117 dst_sel:DWORD dst_unused:UNUSED_PAD src0_sel:DWORD src1_sel:WORD_1
	v_fma_f16 v105, v105, v115, -v114
	s_waitcnt vmcnt(6)
	v_mul_f16_sdwa v114, v25, v118 dst_sel:DWORD dst_unused:UNUSED_PAD src0_sel:DWORD src1_sel:WORD_1
	v_fma_f16 v106, v106, v116, -v138
	s_waitcnt lgkmcnt(2)
	v_lshrrev_b32_e32 v115, 16, v107
	v_fmac_f16_e32 v134, v137, v116
	v_lshrrev_b32_e32 v116, 16, v108
	v_mul_f16_sdwa v137, v113, v117 dst_sel:DWORD dst_unused:UNUSED_PAD src0_sel:DWORD src1_sel:WORD_1
	v_fmac_f16_e32 v133, v113, v117
	v_mul_f16_sdwa v113, v131, v118 dst_sel:DWORD dst_unused:UNUSED_PAD src0_sel:DWORD src1_sel:WORD_1
	s_waitcnt vmcnt(5)
	v_mul_f16_sdwa v138, v107, v119 dst_sel:DWORD dst_unused:UNUSED_PAD src0_sel:DWORD src1_sel:WORD_1
	v_fmac_f16_e32 v114, v131, v118
	s_waitcnt vmcnt(4)
	v_mul_f16_sdwa v131, v108, v120 dst_sel:DWORD dst_unused:UNUSED_PAD src0_sel:DWORD src1_sel:WORD_1
	v_fma_f16 v26, v26, v117, -v137
	v_fma_f16 v25, v25, v118, -v113
	v_mul_f16_sdwa v113, v115, v119 dst_sel:DWORD dst_unused:UNUSED_PAD src0_sel:DWORD src1_sel:WORD_1
	v_mul_f16_sdwa v137, v116, v120 dst_sel:DWORD dst_unused:UNUSED_PAD src0_sel:DWORD src1_sel:WORD_1
	s_waitcnt lgkmcnt(1)
	v_lshrrev_b32_e32 v117, 16, v109
	s_waitcnt vmcnt(3)
	v_mul_f16_sdwa v118, v109, v121 dst_sel:DWORD dst_unused:UNUSED_PAD src0_sel:DWORD src1_sel:WORD_1
	v_fmac_f16_e32 v138, v115, v119
	v_lshrrev_b32_e32 v115, 16, v110
	v_fma_f16 v107, v107, v119, -v113
	s_waitcnt vmcnt(2)
	v_mul_f16_sdwa v113, v110, v122 dst_sel:DWORD dst_unused:UNUSED_PAD src0_sel:DWORD src1_sel:WORD_1
	v_fma_f16 v108, v108, v120, -v137
	s_waitcnt lgkmcnt(0)
	v_lshrrev_b32_e32 v119, 16, v111
	s_waitcnt vmcnt(1)
	v_mul_f16_sdwa v137, v111, v123 dst_sel:DWORD dst_unused:UNUSED_PAD src0_sel:DWORD src1_sel:WORD_1
	v_fmac_f16_e32 v131, v116, v120
	v_lshrrev_b32_e32 v116, 16, v112
	s_waitcnt vmcnt(0)
	v_mul_f16_sdwa v120, v112, v124 dst_sel:DWORD dst_unused:UNUSED_PAD src0_sel:DWORD src1_sel:WORD_1
	v_fmac_f16_e32 v118, v117, v121
	v_mul_f16_sdwa v117, v117, v121 dst_sel:DWORD dst_unused:UNUSED_PAD src0_sel:DWORD src1_sel:WORD_1
	v_fmac_f16_e32 v113, v115, v122
	;; [unrolled: 2-line block ×4, first 2 shown]
	v_mul_f16_sdwa v116, v116, v124 dst_sel:DWORD dst_unused:UNUSED_PAD src0_sel:DWORD src1_sel:WORD_1
	v_fma_f16 v109, v109, v121, -v117
	v_fma_f16 v110, v110, v122, -v115
	v_fma_f16 v111, v111, v123, -v119
	v_pack_b32_f16 v26, v26, v133
	v_fma_f16 v112, v112, v124, -v116
	v_pack_b32_f16 v82, v82, v132
	v_pack_b32_f16 v105, v105, v136
	;; [unrolled: 1-line block ×6, first 2 shown]
	v_add_nc_u32_e32 v117, 0x1200, v57
	v_pack_b32_f16 v109, v109, v118
	v_pack_b32_f16 v108, v108, v131
	;; [unrolled: 1-line block ×5, first 2 shown]
	ds_write2_b32 v125, v26, v82 offset0:35 offset1:170
	ds_write2_b32 v128, v129, v105 offset0:7 offset1:142
	;; [unrolled: 1-line block ×7, first 2 shown]
	s_waitcnt lgkmcnt(0)
	s_barrier
	buffer_gl0_inv
	ds_read2_b32 v[25:26], v78 offset0:70 offset1:205
	ds_read2_b32 v[82:83], v79 offset0:28 offset1:163
	ds_read2_b32 v[105:106], v57 offset1:135
	ds_read2_b32 v[107:108], v77 offset0:42 offset1:177
	ds_read2_b32 v[109:110], v75 offset0:84 offset1:219
	;; [unrolled: 1-line block ×4, first 2 shown]
	ds_read_b32 v115, v57 offset:7560
	s_waitcnt lgkmcnt(0)
	s_barrier
	buffer_gl0_inv
	v_pk_add_f16 v116, v83, v25
	v_pk_add_f16 v117, v83, v25 neg_lo:[0,1] neg_hi:[0,1]
	v_pk_add_f16 v83, v105, v83
	v_pk_add_f16 v118, v107, v26
	;; [unrolled: 1-line block ×3, first 2 shown]
	v_pk_add_f16 v107, v107, v26 neg_lo:[0,1] neg_hi:[0,1]
	v_pk_add_f16 v120, v108, v109
	v_pk_add_f16 v121, v108, v109 neg_lo:[0,1] neg_hi:[0,1]
	v_pk_add_f16 v108, v111, v108
	v_pk_add_f16 v122, v113, v110
	;; [unrolled: 1-line block ×3, first 2 shown]
	v_pk_add_f16 v113, v113, v110 neg_lo:[0,1] neg_hi:[0,1]
	v_pk_add_f16 v124, v114, v115
	v_pk_add_f16 v125, v82, v114
	v_pk_add_f16 v114, v114, v115 neg_lo:[0,1] neg_hi:[0,1]
	v_pk_fma_f16 v105, v116, 0.5, v105 op_sel_hi:[1,0,1] neg_lo:[1,0,0] neg_hi:[1,0,0]
	v_pk_mul_f16 v116, 0x3aee, v117 op_sel_hi:[0,1]
	v_pk_add_f16 v25, v83, v25
	v_pk_fma_f16 v83, v118, 0.5, v106 op_sel_hi:[1,0,1] neg_lo:[1,0,0] neg_hi:[1,0,0]
	v_pk_mul_f16 v106, 0x3aee, v107 op_sel_hi:[0,1]
	v_pk_fma_f16 v107, v120, 0.5, v111 op_sel_hi:[1,0,1] neg_lo:[1,0,0] neg_hi:[1,0,0]
	v_pk_mul_f16 v111, 0x3aee, v121 op_sel_hi:[0,1]
	v_pk_add_f16 v108, v108, v109
	v_pk_fma_f16 v109, v122, 0.5, v112 op_sel_hi:[1,0,1] neg_lo:[1,0,0] neg_hi:[1,0,0]
	v_pk_mul_f16 v112, 0x3aee, v113 op_sel_hi:[0,1]
	v_pk_fma_f16 v82, v124, 0.5, v82 op_sel_hi:[1,0,1] neg_lo:[1,0,0] neg_hi:[1,0,0]
	v_pk_mul_f16 v113, 0x3aee, v114 op_sel_hi:[0,1]
	v_pk_add_f16 v114, v125, v115
	v_pk_add_f16 v115, v105, v116 op_sel:[0,1] op_sel_hi:[1,0] neg_lo:[0,1] neg_hi:[0,1]
	v_pk_add_f16 v105, v105, v116 op_sel:[0,1] op_sel_hi:[1,0]
	v_pk_add_f16 v116, v83, v106 op_sel:[0,1] op_sel_hi:[1,0] neg_lo:[0,1] neg_hi:[0,1]
	v_pk_add_f16 v83, v83, v106 op_sel:[0,1] op_sel_hi:[1,0]
	;; [unrolled: 2-line block ×5, first 2 shown]
	v_bfi_b32 v113, 0xffff, v115, v105
	v_bfi_b32 v105, 0xffff, v105, v115
	v_pk_add_f16 v26, v119, v26
	v_bfi_b32 v115, 0xffff, v116, v83
	v_bfi_b32 v83, 0xffff, v83, v116
	v_pk_add_f16 v110, v123, v110
	v_bfi_b32 v116, 0xffff, v106, v107
	v_bfi_b32 v106, 0xffff, v107, v106
	v_bfi_b32 v107, 0xffff, v111, v109
	v_bfi_b32 v109, 0xffff, v109, v111
	v_bfi_b32 v111, 0xffff, v112, v82
	v_bfi_b32 v82, 0xffff, v82, v112
	ds_write2_b32 v84, v25, v113 offset1:1
	ds_write_b32 v84, v105 offset:8
	ds_write2_b32 v104, v26, v115 offset1:1
	ds_write_b32 v104, v83 offset:8
	;; [unrolled: 2-line block ×5, first 2 shown]
	s_waitcnt lgkmcnt(0)
	s_barrier
	buffer_gl0_inv
	ds_read_b32 v84, v57 offset:7560
	ds_read2_b32 v[25:26], v74 offset0:56 offset1:191
	ds_read2_b32 v[82:83], v75 offset0:84 offset1:219
	;; [unrolled: 1-line block ×5, first 2 shown]
	ds_read2_b32 v[107:108], v57 offset1:135
	ds_read2_b32 v[109:110], v76 offset0:14 offset1:149
	s_waitcnt lgkmcnt(0)
	s_barrier
	buffer_gl0_inv
	v_lshrrev_b32_e32 v111, 16, v84
	v_mul_f16_sdwa v112, v52, v84 dst_sel:DWORD dst_unused:UNUSED_PAD src0_sel:WORD_1 src1_sel:DWORD
	v_lshrrev_b32_e32 v113, 16, v26
	v_mul_f16_sdwa v114, v51, v26 dst_sel:DWORD dst_unused:UNUSED_PAD src0_sel:WORD_1 src1_sel:DWORD
	;; [unrolled: 2-line block ×10, first 2 shown]
	v_mul_f16_sdwa v136, v52, v111 dst_sel:DWORD dst_unused:UNUSED_PAD src0_sel:WORD_1 src1_sel:DWORD
	v_fma_f16 v111, v52, v111, -v112
	v_mul_f16_sdwa v112, v51, v113 dst_sel:DWORD dst_unused:UNUSED_PAD src0_sel:WORD_1 src1_sel:DWORD
	v_fma_f16 v113, v51, v113, -v114
	;; [unrolled: 2-line block ×3, first 2 shown]
	v_fma_f16 v116, v56, v117, -v118
	v_mul_f16_sdwa v118, v54, v119 dst_sel:DWORD dst_unused:UNUSED_PAD src0_sel:WORD_1 src1_sel:DWORD
	v_fma_f16 v119, v54, v119, -v120
	v_fma_f16 v120, v53, v121, -v122
	v_mul_f16_sdwa v122, v49, v123 dst_sel:DWORD dst_unused:UNUSED_PAD src0_sel:WORD_1 src1_sel:DWORD
	v_fma_f16 v123, v49, v123, -v124
	v_fma_f16 v124, v50, v125, -v126
	v_mul_f16_sdwa v125, v50, v125 dst_sel:DWORD dst_unused:UNUSED_PAD src0_sel:WORD_1 src1_sel:DWORD
	v_mul_f16_sdwa v126, v48, v127 dst_sel:DWORD dst_unused:UNUSED_PAD src0_sel:WORD_1 src1_sel:DWORD
	v_fma_f16 v127, v48, v127, -v128
	v_fma_f16 v128, v47, v129, -v130
	v_mul_f16_sdwa v129, v47, v129 dst_sel:DWORD dst_unused:UNUSED_PAD src0_sel:WORD_1 src1_sel:DWORD
	v_mul_f16_sdwa v117, v56, v117 dst_sel:DWORD dst_unused:UNUSED_PAD src0_sel:WORD_1 src1_sel:DWORD
	v_mul_f16_sdwa v121, v53, v121 dst_sel:DWORD dst_unused:UNUSED_PAD src0_sel:WORD_1 src1_sel:DWORD
	v_lshrrev_b32_e32 v131, 16, v105
	v_lshrrev_b32_e32 v132, 16, v108
	;; [unrolled: 1-line block ×3, first 2 shown]
	v_fmac_f16_e32 v136, v52, v84
	v_fmac_f16_e32 v112, v51, v26
	;; [unrolled: 1-line block ×7, first 2 shown]
	v_add_f16_e32 v25, v113, v111
	v_add_f16_e32 v48, v123, v124
	v_lshrrev_b32_e32 v134, 16, v110
	v_fmac_f16_e32 v117, v56, v83
	v_fmac_f16_e32 v118, v54, v82
	;; [unrolled: 1-line block ×3, first 2 shown]
	v_add_f16_e32 v51, v128, v127
	v_add_f16_e32 v54, v115, v116
	;; [unrolled: 1-line block ×5, first 2 shown]
	v_fmac_f16_e32 v131, -0.5, v25
	v_add_f16_e32 v25, v112, v136
	v_add_f16_e32 v101, v105, v112
	v_sub_f16_e32 v102, v112, v136
	v_fmac_f16_e32 v132, -0.5, v48
	v_add_f16_e32 v48, v122, v125
	v_sub_f16_e32 v104, v122, v125
	v_add_f16_e32 v106, v129, v126
	v_add_f16_e32 v112, v107, v129
	v_lshrrev_b32_e32 v135, 16, v109
	v_add_f16_e32 v55, v134, v115
	v_sub_f16_e32 v56, v115, v116
	v_add_f16_e32 v82, v120, v119
	v_add_f16_e32 v103, v108, v122
	v_fmac_f16_e32 v133, -0.5, v51
	v_sub_f16_e32 v51, v129, v126
	v_fmac_f16_e32 v134, -0.5, v54
	v_add_f16_e32 v54, v114, v117
	v_add_f16_e32 v115, v121, v118
	v_sub_f16_e32 v47, v113, v111
	v_sub_f16_e32 v50, v123, v124
	;; [unrolled: 1-line block ×3, first 2 shown]
	v_add_f16_e32 v52, v52, v127
	v_fmac_f16_e32 v105, -0.5, v25
	v_fmamk_f16 v25, v102, 0x3aee, v131
	v_fmac_f16_e32 v131, 0xbaee, v102
	v_fmac_f16_e32 v108, -0.5, v48
	v_fmamk_f16 v48, v104, 0x3aee, v132
	v_fmac_f16_e32 v132, 0xbaee, v104
	v_fma_f16 v102, -0.5, v106, v107
	v_add_f16_e32 v104, v112, v126
	v_add_f16_e32 v83, v135, v120
	v_sub_f16_e32 v84, v120, v119
	v_add_f16_e32 v120, v109, v121
	v_add_f16_e32 v49, v49, v124
	;; [unrolled: 1-line block ×3, first 2 shown]
	v_sub_f16_e32 v114, v114, v117
	v_fmac_f16_e32 v135, -0.5, v82
	v_sub_f16_e32 v82, v121, v118
	v_fmamk_f16 v106, v51, 0x3aee, v133
	v_fmac_f16_e32 v133, 0xbaee, v51
	v_add_f16_e32 v51, v103, v125
	v_fmac_f16_e32 v110, -0.5, v54
	v_fma_f16 v103, -0.5, v115, v109
	v_add_f16_e32 v26, v26, v111
	v_fmamk_f16 v111, v47, 0xbaee, v105
	v_fmac_f16_e32 v105, 0x3aee, v47
	v_fmamk_f16 v47, v50, 0xbaee, v108
	v_fmac_f16_e32 v108, 0x3aee, v50
	v_pack_b32_f16 v50, v104, v52
	v_fmamk_f16 v52, v53, 0xbaee, v102
	v_fmac_f16_e32 v102, 0x3aee, v53
	v_add_f16_e32 v83, v83, v119
	v_add_f16_e32 v107, v120, v118
	;; [unrolled: 1-line block ×3, first 2 shown]
	v_fmamk_f16 v54, v114, 0x3aee, v134
	v_fmac_f16_e32 v134, 0xbaee, v114
	v_fmamk_f16 v109, v82, 0x3aee, v135
	v_fmac_f16_e32 v135, 0xbaee, v82
	v_add_f16_e32 v82, v113, v117
	v_add_f16_e32 v101, v101, v136
	v_pack_b32_f16 v49, v51, v49
	v_fmamk_f16 v51, v56, 0xbaee, v110
	v_fmac_f16_e32 v110, 0x3aee, v56
	v_fmamk_f16 v56, v84, 0xbaee, v103
	v_fmac_f16_e32 v103, 0x3aee, v84
	v_pack_b32_f16 v52, v52, v106
	v_pack_b32_f16 v84, v102, v133
	;; [unrolled: 1-line block ×13, first 2 shown]
	ds_write2_b32 v96, v50, v52 offset1:3
	ds_write_b32 v96, v84 offset:24
	ds_write2_b32 v97, v49, v47 offset1:3
	ds_write_b32 v97, v83 offset:24
	;; [unrolled: 2-line block ×5, first 2 shown]
	s_waitcnt lgkmcnt(0)
	s_barrier
	buffer_gl0_inv
	ds_read2_b32 v[47:48], v79 offset0:28 offset1:163
	ds_read2_b32 v[49:50], v77 offset0:42 offset1:177
	;; [unrolled: 1-line block ×4, first 2 shown]
	ds_read_b32 v84, v57 offset:7560
	ds_read2_b32 v[55:56], v74 offset0:56 offset1:191
	ds_read2_b32 v[25:26], v76 offset0:14 offset1:149
	ds_read2_b32 v[82:83], v57 offset1:135
	s_waitcnt lgkmcnt(0)
	s_barrier
	buffer_gl0_inv
	v_lshrrev_b32_e32 v96, 16, v47
	v_mul_f16_sdwa v97, v20, v47 dst_sel:DWORD dst_unused:UNUSED_PAD src0_sel:WORD_1 src1_sel:DWORD
	v_lshrrev_b32_e32 v98, 16, v50
	v_mul_f16_sdwa v99, v21, v50 dst_sel:DWORD dst_unused:UNUSED_PAD src0_sel:WORD_1 src1_sel:DWORD
	;; [unrolled: 2-line block ×12, first 2 shown]
	v_lshrrev_b32_e32 v121, 16, v83
	v_fma_f16 v97, v20, v96, -v97
	v_fma_f16 v99, v21, v98, -v99
	v_mul_f16_sdwa v98, v21, v98 dst_sel:DWORD dst_unused:UNUSED_PAD src0_sel:WORD_1 src1_sel:DWORD
	v_fma_f16 v101, v22, v100, -v101
	v_mul_f16_sdwa v100, v22, v100 dst_sel:DWORD dst_unused:UNUSED_PAD src0_sel:WORD_1 src1_sel:DWORD
	v_mul_f16_sdwa v123, v16, v104 dst_sel:DWORD dst_unused:UNUSED_PAD src0_sel:WORD_1 src1_sel:DWORD
	v_mul_f16_sdwa v124, v18, v106 dst_sel:DWORD dst_unused:UNUSED_PAD src0_sel:WORD_1 src1_sel:DWORD
	v_fma_f16 v104, v16, v104, -v105
	v_fma_f16 v105, v18, v106, -v107
	;; [unrolled: 1-line block ×3, first 2 shown]
	v_mul_f16_sdwa v107, v19, v108 dst_sel:DWORD dst_unused:UNUSED_PAD src0_sel:WORD_1 src1_sel:DWORD
	v_fma_f16 v108, v17, v110, -v111
	v_mul_f16_sdwa v109, v17, v110 dst_sel:DWORD dst_unused:UNUSED_PAD src0_sel:WORD_1 src1_sel:DWORD
	v_mul_f16_sdwa v110, v13, v112 dst_sel:DWORD dst_unused:UNUSED_PAD src0_sel:WORD_1 src1_sel:DWORD
	;; [unrolled: 1-line block ×4, first 2 shown]
	v_fma_f16 v112, v13, v112, -v113
	v_fma_f16 v113, v14, v114, -v115
	;; [unrolled: 1-line block ×4, first 2 shown]
	v_mul_f16_sdwa v116, v12, v118 dst_sel:DWORD dst_unused:UNUSED_PAD src0_sel:WORD_1 src1_sel:DWORD
	v_lshrrev_b32_e32 v122, 16, v82
	v_fma_f16 v103, v23, v102, -v103
	v_mul_f16_sdwa v102, v23, v102 dst_sel:DWORD dst_unused:UNUSED_PAD src0_sel:WORD_1 src1_sel:DWORD
	v_mul_f16_sdwa v96, v20, v96 dst_sel:DWORD dst_unused:UNUSED_PAD src0_sel:WORD_1 src1_sel:DWORD
	v_lshrrev_b32_e32 v120, 16, v25
	v_fmac_f16_e32 v98, v21, v50
	v_fmac_f16_e32 v100, v22, v51
	;; [unrolled: 1-line block ×6, first 2 shown]
	v_add_f16_e32 v21, v121, v97
	v_add_f16_e32 v51, v112, v113
	;; [unrolled: 1-line block ×3, first 2 shown]
	v_fmac_f16_e32 v102, v23, v54
	v_fmac_f16_e32 v125, v15, v53
	v_add_f16_e32 v50, v122, v115
	v_sub_f16_e32 v54, v112, v115
	v_sub_f16_e32 v56, v113, v114
	v_fmac_f16_e32 v123, v16, v48
	v_fmac_f16_e32 v124, v18, v52
	;; [unrolled: 1-line block ×3, first 2 shown]
	v_add_f16_e32 v12, v108, v105
	v_add_f16_e32 v13, v104, v106
	v_sub_f16_e32 v15, v108, v104
	v_sub_f16_e32 v16, v105, v106
	v_fmac_f16_e32 v96, v20, v47
	v_add_f16_e32 v19, v99, v101
	v_add_f16_e32 v20, v97, v103
	v_sub_f16_e32 v22, v99, v97
	v_sub_f16_e32 v23, v101, v103
	v_add_f16_e32 v14, v120, v104
	v_sub_f16_e32 v18, v104, v106
	v_sub_f16_e32 v26, v99, v101
	;; [unrolled: 1-line block ×8, first 2 shown]
	v_fma_f16 v51, -0.5, v51, v122
	v_fmac_f16_e32 v122, -0.5, v55
	v_add_f16_e32 v55, v110, v111
	v_add_f16_e32 v21, v21, v99
	;; [unrolled: 1-line block ×3, first 2 shown]
	v_sub_f16_e32 v47, v97, v103
	v_sub_f16_e32 v97, v103, v101
	v_add_f16_e32 v50, v50, v112
	v_add_f16_e32 v54, v54, v56
	;; [unrolled: 1-line block ×3, first 2 shown]
	v_fma_f16 v12, -0.5, v12, v120
	v_fmac_f16_e32 v120, -0.5, v13
	v_add_f16_e32 v13, v15, v16
	v_add_f16_e32 v15, v109, v124
	;; [unrolled: 1-line block ×3, first 2 shown]
	v_fma_f16 v19, -0.5, v19, v121
	v_fmac_f16_e32 v121, -0.5, v20
	v_add_f16_e32 v20, v22, v23
	v_add_f16_e32 v22, v98, v100
	;; [unrolled: 1-line block ×4, first 2 shown]
	v_sub_f16_e32 v53, v112, v113
	v_add_f16_e32 v117, v25, v123
	v_add_f16_e32 v48, v48, v49
	v_sub_f16_e32 v49, v98, v100
	v_sub_f16_e32 v112, v96, v102
	v_add_f16_e32 v104, v104, v115
	v_sub_f16_e32 v115, v116, v125
	v_add_f16_e32 v99, v99, v110
	v_fma_f16 v55, -0.5, v55, v82
	v_add_f16_e32 v84, v84, v97
	v_sub_f16_e32 v97, v116, v110
	v_sub_f16_e32 v131, v110, v111
	;; [unrolled: 1-line block ×4, first 2 shown]
	v_fma_f16 v56, -0.5, v56, v82
	v_add_f16_e32 v50, v50, v113
	v_sub_f16_e32 v17, v108, v105
	v_sub_f16_e32 v118, v109, v123
	;; [unrolled: 1-line block ×4, first 2 shown]
	v_add_f16_e32 v14, v14, v108
	v_sub_f16_e32 v108, v125, v111
	v_fma_f16 v15, -0.5, v15, v25
	v_fmac_f16_e32 v25, -0.5, v16
	v_sub_f16_e32 v129, v98, v96
	v_sub_f16_e32 v96, v96, v98
	v_fma_f16 v22, -0.5, v22, v83
	v_add_f16_e32 v98, v128, v98
	v_sub_f16_e32 v127, v123, v107
	v_fmac_f16_e32 v83, -0.5, v23
	v_add_f16_e32 v21, v21, v101
	v_sub_f16_e32 v123, v123, v109
	v_fmamk_f16 v110, v49, 0xbb9c, v121
	v_fmac_f16_e32 v121, 0x3b9c, v49
	v_fmamk_f16 v82, v115, 0x3b9c, v51
	v_fmamk_f16 v101, v112, 0x3b9c, v19
	v_fmac_f16_e32 v19, 0xbb9c, v112
	v_add_f16_e32 v109, v117, v109
	v_add_f16_e32 v99, v99, v111
	v_fmamk_f16 v111, v52, 0xbb9c, v55
	v_add_f16_e32 v113, v116, v132
	v_fmamk_f16 v116, v131, 0xbb9c, v122
	v_fmac_f16_e32 v122, 0x3b9c, v131
	v_fmac_f16_e32 v51, 0xbb9c, v115
	v_add_f16_e32 v50, v50, v114
	v_fmamk_f16 v114, v53, 0x3b9c, v56
	v_fmac_f16_e32 v56, 0xbb9c, v53
	v_add_f16_e32 v16, v118, v119
	v_add_f16_e32 v97, v97, v108
	v_fmamk_f16 v108, v126, 0xbb9c, v120
	v_fmac_f16_e32 v120, 0x3b9c, v126
	v_fmamk_f16 v118, v17, 0x3b9c, v25
	v_fmac_f16_e32 v25, 0xbb9c, v17
	v_fmac_f16_e32 v55, 0x3b9c, v52
	v_sub_f16_e32 v130, v100, v102
	v_sub_f16_e32 v133, v102, v100
	v_add_f16_e32 v98, v98, v100
	v_fmamk_f16 v100, v47, 0xbb9c, v22
	v_sub_f16_e32 v134, v107, v124
	v_fmamk_f16 v117, v127, 0x3b9c, v12
	v_fmac_f16_e32 v12, 0xbb9c, v127
	v_fmamk_f16 v119, v26, 0x3b9c, v83
	v_fmac_f16_e32 v83, 0xbb9c, v26
	v_add_f16_e32 v21, v21, v103
	v_fmac_f16_e32 v22, 0x3b9c, v47
	v_fmamk_f16 v103, v18, 0xbb9c, v15
	v_fmac_f16_e32 v15, 0x3b9c, v18
	v_add_f16_e32 v14, v14, v105
	v_fmac_f16_e32 v121, 0xb8b4, v112
	v_fmac_f16_e32 v82, 0x38b4, v131
	;; [unrolled: 1-line block ×5, first 2 shown]
	v_add_f16_e32 v49, v109, v124
	v_fmac_f16_e32 v111, 0xb8b4, v53
	v_fmac_f16_e32 v116, 0x38b4, v115
	;; [unrolled: 1-line block ×9, first 2 shown]
	v_add_f16_e32 v96, v96, v133
	v_fmac_f16_e32 v100, 0xb8b4, v26
	v_add_f16_e32 v23, v129, v130
	v_add_f16_e32 v105, v123, v134
	v_fmac_f16_e32 v117, 0x38b4, v126
	v_fmac_f16_e32 v12, 0xb8b4, v126
	;; [unrolled: 1-line block ×7, first 2 shown]
	v_add_f16_e32 v14, v14, v106
	v_fmac_f16_e32 v108, 0x38b4, v127
	v_fmac_f16_e32 v121, 0x34f2, v20
	v_add_f16_e32 v99, v99, v125
	v_fmac_f16_e32 v82, 0x34f2, v48
	v_fmac_f16_e32 v110, 0x34f2, v20
	;; [unrolled: 3-line block ×3, first 2 shown]
	v_fmac_f16_e32 v116, 0x34f2, v54
	v_fmac_f16_e32 v122, 0x34f2, v54
	;; [unrolled: 1-line block ×3, first 2 shown]
	v_add_f16_e32 v48, v98, v102
	v_fmac_f16_e32 v114, 0x34f2, v113
	v_fmac_f16_e32 v56, 0x34f2, v113
	;; [unrolled: 1-line block ×16, first 2 shown]
	v_pack_b32_f16 v13, v99, v50
	v_pack_b32_f16 v14, v20, v14
	v_fmac_f16_e32 v118, 0x34f2, v16
	v_pack_b32_f16 v20, v111, v82
	v_pack_b32_f16 v17, v48, v21
	;; [unrolled: 1-line block ×13, first 2 shown]
	ds_write2_b32 v86, v13, v20 offset1:9
	ds_write2_b32 v86, v21, v23 offset0:18 offset1:27
	ds_write_b32 v86, v25 offset:144
	ds_write2_b32 v87, v17, v26 offset1:9
	ds_write2_b32 v87, v47, v18 offset0:18 offset1:27
	ds_write_b32 v87, v19 offset:144
	;; [unrolled: 3-line block ×3, first 2 shown]
	s_waitcnt lgkmcnt(0)
	s_barrier
	buffer_gl0_inv
	ds_read2_b32 v[14:15], v79 offset0:28 offset1:163
	ds_read2_b32 v[16:17], v77 offset0:42 offset1:177
	;; [unrolled: 1-line block ×4, first 2 shown]
	ds_read_b32 v47, v57 offset:7560
	ds_read2_b32 v[22:23], v74 offset0:56 offset1:191
	ds_read2_b32 v[12:13], v76 offset0:14 offset1:149
	ds_read2_b32 v[25:26], v57 offset1:135
	s_waitcnt lgkmcnt(0)
	s_barrier
	buffer_gl0_inv
	v_lshrrev_b32_e32 v56, 16, v15
	v_mul_f16_sdwa v82, v4, v15 dst_sel:DWORD dst_unused:UNUSED_PAD src0_sel:WORD_1 src1_sel:DWORD
	v_lshrrev_b32_e32 v83, 16, v19
	v_mul_f16_sdwa v84, v6, v19 dst_sel:DWORD dst_unused:UNUSED_PAD src0_sel:WORD_1 src1_sel:DWORD
	;; [unrolled: 2-line block ×7, first 2 shown]
	v_lshrrev_b32_e32 v103, 16, v13
	v_lshrrev_b32_e32 v52, 16, v18
	v_mul_f16_sdwa v53, v10, v18 dst_sel:DWORD dst_unused:UNUSED_PAD src0_sel:WORD_1 src1_sel:DWORD
	v_mul_f16_sdwa v104, v0, v13 dst_sel:DWORD dst_unused:UNUSED_PAD src0_sel:WORD_1 src1_sel:DWORD
	v_lshrrev_b32_e32 v48, 16, v14
	v_mul_f16_sdwa v49, v8, v14 dst_sel:DWORD dst_unused:UNUSED_PAD src0_sel:WORD_1 src1_sel:DWORD
	v_lshrrev_b32_e32 v50, 16, v17
	;; [unrolled: 2-line block ×3, first 2 shown]
	v_mul_f16_sdwa v55, v11, v21 dst_sel:DWORD dst_unused:UNUSED_PAD src0_sel:WORD_1 src1_sel:DWORD
	v_mul_f16_sdwa v108, v4, v56 dst_sel:DWORD dst_unused:UNUSED_PAD src0_sel:WORD_1 src1_sel:DWORD
	;; [unrolled: 1-line block ×3, first 2 shown]
	v_fma_f16 v56, v4, v56, -v82
	v_fma_f16 v82, v6, v83, -v84
	;; [unrolled: 1-line block ×3, first 2 shown]
	v_mul_f16_sdwa v84, v7, v86 dst_sel:DWORD dst_unused:UNUSED_PAD src0_sel:WORD_1 src1_sel:DWORD
	v_fma_f16 v86, v5, v88, -v96
	v_mul_f16_sdwa v87, v5, v88 dst_sel:DWORD dst_unused:UNUSED_PAD src0_sel:WORD_1 src1_sel:DWORD
	v_mul_f16_sdwa v88, v1, v97 dst_sel:DWORD dst_unused:UNUSED_PAD src0_sel:WORD_1 src1_sel:DWORD
	;; [unrolled: 1-line block ×4, first 2 shown]
	v_fma_f16 v97, v1, v97, -v98
	v_fma_f16 v98, v2, v99, -v100
	;; [unrolled: 1-line block ×3, first 2 shown]
	v_mul_f16_sdwa v101, v0, v103 dst_sel:DWORD dst_unused:UNUSED_PAD src0_sel:WORD_1 src1_sel:DWORD
	v_fma_f16 v53, v10, v52, -v53
	v_mul_f16_sdwa v52, v10, v52 dst_sel:DWORD dst_unused:UNUSED_PAD src0_sel:WORD_1 src1_sel:DWORD
	v_fma_f16 v100, v0, v103, -v104
	v_fma_f16 v49, v8, v48, -v49
	v_mul_f16_sdwa v48, v8, v48 dst_sel:DWORD dst_unused:UNUSED_PAD src0_sel:WORD_1 src1_sel:DWORD
	v_fma_f16 v51, v9, v50, -v51
	v_mul_f16_sdwa v50, v9, v50 dst_sel:DWORD dst_unused:UNUSED_PAD src0_sel:WORD_1 src1_sel:DWORD
	;; [unrolled: 2-line block ×3, first 2 shown]
	v_lshrrev_b32_e32 v106, 16, v26
	v_lshrrev_b32_e32 v105, 16, v12
	;; [unrolled: 1-line block ×3, first 2 shown]
	v_fmac_f16_e32 v88, v1, v16
	v_fmac_f16_e32 v96, v2, v23
	;; [unrolled: 1-line block ×9, first 2 shown]
	v_add_f16_e32 v0, v86, v82
	v_add_f16_e32 v1, v56, v83
	v_sub_f16_e32 v3, v86, v56
	v_sub_f16_e32 v4, v82, v83
	v_add_f16_e32 v18, v97, v98
	v_add_f16_e32 v22, v100, v99
	v_fmac_f16_e32 v48, v8, v14
	v_fmac_f16_e32 v50, v9, v17
	v_fmac_f16_e32 v54, v11, v21
	v_add_f16_e32 v7, v51, v53
	v_add_f16_e32 v8, v49, v55
	v_sub_f16_e32 v10, v51, v49
	v_sub_f16_e32 v11, v53, v55
	v_add_f16_e32 v9, v106, v49
	v_add_f16_e32 v2, v105, v56
	v_sub_f16_e32 v6, v56, v83
	v_sub_f16_e32 v15, v100, v97
	;; [unrolled: 1-line block ×3, first 2 shown]
	v_add_f16_e32 v17, v107, v100
	v_sub_f16_e32 v19, v100, v99
	v_sub_f16_e32 v21, v97, v100
	v_sub_f16_e32 v56, v56, v86
	v_sub_f16_e32 v100, v83, v82
	v_add_f16_e32 v118, v88, v96
	v_add_f16_e32 v120, v25, v101
	v_fma_f16 v0, -0.5, v0, v105
	v_fmac_f16_e32 v105, -0.5, v1
	v_add_f16_e32 v1, v3, v4
	v_add_f16_e32 v3, v87, v109
	v_add_f16_e32 v4, v108, v84
	v_sub_f16_e32 v103, v87, v108
	v_sub_f16_e32 v104, v109, v84
	v_add_f16_e32 v119, v101, v110
	v_fma_f16 v18, -0.5, v18, v107
	v_sub_f16_e32 v122, v88, v96
	v_fmac_f16_e32 v107, -0.5, v22
	v_sub_f16_e32 v23, v98, v99
	v_fma_f16 v7, -0.5, v7, v106
	v_fmac_f16_e32 v106, -0.5, v8
	v_add_f16_e32 v8, v10, v11
	v_add_f16_e32 v10, v50, v52
	;; [unrolled: 1-line block ×3, first 2 shown]
	v_sub_f16_e32 v14, v49, v55
	v_sub_f16_e32 v47, v49, v51
	;; [unrolled: 1-line block ×3, first 2 shown]
	v_add_f16_e32 v11, v48, v54
	v_add_f16_e32 v9, v9, v51
	v_sub_f16_e32 v20, v97, v98
	v_add_f16_e32 v102, v12, v108
	v_sub_f16_e32 v114, v50, v48
	v_sub_f16_e32 v116, v50, v52
	;; [unrolled: 1-line block ×3, first 2 shown]
	v_add_f16_e32 v15, v15, v16
	v_sub_f16_e32 v16, v101, v88
	v_add_f16_e32 v17, v17, v97
	v_sub_f16_e32 v97, v101, v110
	v_sub_f16_e32 v101, v88, v101
	;; [unrolled: 1-line block ×3, first 2 shown]
	v_add_f16_e32 v48, v56, v100
	v_fma_f16 v100, -0.5, v118, v25
	v_add_f16_e32 v88, v120, v88
	v_fma_f16 v3, -0.5, v3, v12
	v_fmac_f16_e32 v12, -0.5, v4
	v_add_f16_e32 v4, v103, v104
	v_fma_f16 v25, -0.5, v119, v25
	v_fmamk_f16 v103, v122, 0xbb9c, v107
	v_fmac_f16_e32 v107, 0x3b9c, v122
	v_sub_f16_e32 v5, v86, v82
	v_sub_f16_e32 v111, v87, v109
	v_add_f16_e32 v2, v2, v86
	v_add_f16_e32 v21, v21, v23
	v_sub_f16_e32 v23, v54, v52
	v_fma_f16 v10, -0.5, v10, v26
	v_add_f16_e32 v50, v113, v50
	v_sub_f16_e32 v13, v51, v53
	v_sub_f16_e32 v112, v108, v84
	v_add_f16_e32 v47, v47, v49
	v_sub_f16_e32 v49, v108, v87
	v_sub_f16_e32 v51, v84, v109
	v_fmac_f16_e32 v26, -0.5, v11
	v_add_f16_e32 v9, v9, v53
	v_sub_f16_e32 v121, v110, v96
	v_sub_f16_e32 v123, v96, v110
	v_fmamk_f16 v86, v116, 0xbb9c, v106
	v_fmac_f16_e32 v106, 0x3b9c, v116
	v_add_f16_e32 v17, v17, v98
	v_fmamk_f16 v98, v97, 0x3b9c, v18
	v_add_f16_e32 v53, v102, v87
	v_add_f16_e32 v88, v88, v96
	v_fmamk_f16 v96, v19, 0xbb9c, v100
	v_fmac_f16_e32 v18, 0xbb9c, v97
	v_fmac_f16_e32 v103, 0x38b4, v97
	;; [unrolled: 1-line block ×3, first 2 shown]
	v_fmamk_f16 v97, v20, 0x3b9c, v25
	v_fmac_f16_e32 v25, 0xbb9c, v20
	v_fmamk_f16 v56, v111, 0xbb9c, v105
	v_fmac_f16_e32 v105, 0x3b9c, v111
	v_add_f16_e32 v2, v2, v82
	v_fmamk_f16 v82, v5, 0x3b9c, v12
	v_fmac_f16_e32 v12, 0xbb9c, v5
	v_fmac_f16_e32 v100, 0x3b9c, v19
	v_sub_f16_e32 v115, v52, v54
	v_add_f16_e32 v22, v22, v23
	v_fmamk_f16 v23, v117, 0x3b9c, v7
	v_add_f16_e32 v50, v50, v52
	v_fmamk_f16 v52, v14, 0xbb9c, v10
	v_fmac_f16_e32 v7, 0xbb9c, v117
	v_add_f16_e32 v49, v49, v51
	v_fmamk_f16 v51, v112, 0x3b9c, v0
	v_fmac_f16_e32 v0, 0xbb9c, v112
	v_fmamk_f16 v87, v13, 0x3b9c, v26
	v_fmac_f16_e32 v26, 0xbb9c, v13
	v_add_f16_e32 v9, v9, v55
	v_fmac_f16_e32 v10, 0x3b9c, v14
	v_fmamk_f16 v55, v6, 0xbb9c, v3
	v_fmac_f16_e32 v3, 0x3b9c, v6
	v_add_f16_e32 v16, v16, v121
	v_fmac_f16_e32 v106, 0xb8b4, v117
	v_fmac_f16_e32 v98, 0x38b4, v122
	;; [unrolled: 1-line block ×3, first 2 shown]
	v_add_f16_e32 v53, v53, v109
	v_fmac_f16_e32 v96, 0xb8b4, v20
	v_add_f16_e32 v101, v101, v123
	v_fmac_f16_e32 v18, 0xb8b4, v122
	v_fmac_f16_e32 v97, 0xb8b4, v19
	;; [unrolled: 1-line block ×8, first 2 shown]
	v_add_f16_e32 v11, v114, v115
	v_fmac_f16_e32 v7, 0xb8b4, v116
	v_fmac_f16_e32 v51, 0x38b4, v111
	v_fmac_f16_e32 v0, 0xb8b4, v111
	v_fmac_f16_e32 v26, 0x38b4, v14
	v_fmac_f16_e32 v87, 0xb8b4, v14
	v_fmac_f16_e32 v10, 0x38b4, v13
	v_fmac_f16_e32 v55, 0xb8b4, v5
	v_fmac_f16_e32 v3, 0x38b4, v5
	v_add_f16_e32 v17, v17, v99
	v_add_f16_e32 v2, v2, v83
	v_fmac_f16_e32 v56, 0x38b4, v112
	v_fmac_f16_e32 v106, 0x34f2, v8
	v_add_f16_e32 v83, v88, v110
	v_fmac_f16_e32 v98, 0x34f2, v15
	v_fmac_f16_e32 v86, 0x34f2, v8
	;; [unrolled: 3-line block ×3, first 2 shown]
	v_fmac_f16_e32 v103, 0x34f2, v21
	v_fmac_f16_e32 v107, 0x34f2, v21
	;; [unrolled: 1-line block ×3, first 2 shown]
	v_add_f16_e32 v15, v50, v54
	v_fmac_f16_e32 v97, 0x34f2, v101
	v_fmac_f16_e32 v25, 0x34f2, v101
	;; [unrolled: 1-line block ×16, first 2 shown]
	v_pack_b32_f16 v1, v83, v17
	v_fmac_f16_e32 v82, 0x34f2, v4
	v_pack_b32_f16 v2, v8, v2
	v_pack_b32_f16 v8, v96, v98
	;; [unrolled: 1-line block ×14, first 2 shown]
	ds_write2_b32 v85, v1, v8 offset1:45
	ds_write2_b32 v85, v9, v11 offset0:90 offset1:135
	ds_write_b32 v85, v12 offset:720
	ds_write2_b32 v90, v5, v13 offset1:45
	ds_write2_b32 v90, v14, v6 offset0:90 offset1:135
	ds_write_b32 v90, v7 offset:720
	;; [unrolled: 3-line block ×3, first 2 shown]
	s_waitcnt lgkmcnt(0)
	s_barrier
	buffer_gl0_inv
	ds_read_b32 v14, v57 offset:7560
	ds_read2_b32 v[0:1], v74 offset0:56 offset1:191
	ds_read2_b32 v[2:3], v75 offset0:84 offset1:219
	;; [unrolled: 1-line block ×5, first 2 shown]
	ds_read2_b32 v[10:11], v57 offset1:135
	ds_read2_b32 v[12:13], v76 offset0:14 offset1:149
	s_waitcnt lgkmcnt(0)
	s_barrier
	buffer_gl0_inv
	v_lshrrev_b32_e32 v15, 16, v14
	v_mul_f16_sdwa v18, v38, v14 dst_sel:DWORD dst_unused:UNUSED_PAD src0_sel:WORD_1 src1_sel:DWORD
	v_lshrrev_b32_e32 v19, 16, v0
	v_mul_f16_sdwa v20, v45, v0 dst_sel:DWORD dst_unused:UNUSED_PAD src0_sel:WORD_1 src1_sel:DWORD
	;; [unrolled: 2-line block ×10, first 2 shown]
	v_mul_f16_sdwa v86, v38, v15 dst_sel:DWORD dst_unused:UNUSED_PAD src0_sel:WORD_1 src1_sel:DWORD
	v_fma_f16 v15, v38, v15, -v18
	v_mul_f16_sdwa v18, v45, v19 dst_sel:DWORD dst_unused:UNUSED_PAD src0_sel:WORD_1 src1_sel:DWORD
	v_fma_f16 v19, v45, v19, -v20
	v_fma_f16 v20, v46, v21, -v22
	v_mul_f16_sdwa v21, v46, v21 dst_sel:DWORD dst_unused:UNUSED_PAD src0_sel:WORD_1 src1_sel:DWORD
	v_fma_f16 v22, v44, v23, -v25
	v_fma_f16 v25, v43, v26, -v47
	v_mul_f16_sdwa v47, v41, v48 dst_sel:DWORD dst_unused:UNUSED_PAD src0_sel:WORD_1 src1_sel:DWORD
	v_fma_f16 v48, v41, v48, -v49
	v_fma_f16 v49, v42, v50, -v51
	v_mul_f16_sdwa v50, v42, v50 dst_sel:DWORD dst_unused:UNUSED_PAD src0_sel:WORD_1 src1_sel:DWORD
	v_mul_f16_sdwa v51, v40, v52 dst_sel:DWORD dst_unused:UNUSED_PAD src0_sel:WORD_1 src1_sel:DWORD
	v_fma_f16 v52, v40, v52, -v53
	v_fma_f16 v53, v39, v54, -v55
	v_mul_f16_sdwa v54, v39, v54 dst_sel:DWORD dst_unused:UNUSED_PAD src0_sel:WORD_1 src1_sel:DWORD
	v_lshrrev_b32_e32 v83, 16, v13
	v_fma_f16 v17, v37, v16, -v17
	v_mul_f16_sdwa v16, v37, v16 dst_sel:DWORD dst_unused:UNUSED_PAD src0_sel:WORD_1 src1_sel:DWORD
	v_mul_f16_sdwa v23, v44, v23 dst_sel:DWORD dst_unused:UNUSED_PAD src0_sel:WORD_1 src1_sel:DWORD
	;; [unrolled: 1-line block ×3, first 2 shown]
	v_lshrrev_b32_e32 v56, 16, v11
	v_lshrrev_b32_e32 v82, 16, v10
	;; [unrolled: 1-line block ×3, first 2 shown]
	v_fmac_f16_e32 v18, v45, v0
	v_fmac_f16_e32 v21, v46, v3
	;; [unrolled: 1-line block ×6, first 2 shown]
	v_add_f16_e32 v0, v48, v49
	v_add_f16_e32 v4, v53, v52
	v_fmac_f16_e32 v86, v38, v14
	v_fmac_f16_e32 v16, v37, v1
	;; [unrolled: 1-line block ×4, first 2 shown]
	v_add_f16_e32 v7, v83, v19
	v_lshrrev_b32_e32 v85, 16, v8
	v_add_f16_e32 v1, v56, v48
	v_add_f16_e32 v3, v82, v53
	;; [unrolled: 1-line block ×3, first 2 shown]
	v_sub_f16_e32 v9, v19, v20
	v_add_f16_e32 v14, v84, v25
	v_add_f16_e32 v19, v25, v22
	;; [unrolled: 1-line block ×3, first 2 shown]
	v_fmac_f16_e32 v56, -0.5, v0
	v_add_f16_e32 v0, v47, v50
	v_add_f16_e32 v41, v54, v51
	v_fmac_f16_e32 v82, -0.5, v4
	v_add_f16_e32 v4, v18, v21
	v_add_f16_e32 v43, v26, v23
	v_add_f16_e32 v44, v12, v26
	v_add_f16_e32 v7, v7, v20
	v_sub_f16_e32 v20, v26, v23
	v_add_f16_e32 v26, v16, v86
	v_sub_f16_e32 v2, v48, v49
	v_sub_f16_e32 v5, v53, v52
	;; [unrolled: 1-line block ×3, first 2 shown]
	v_add_f16_e32 v37, v85, v17
	v_add_f16_e32 v39, v11, v47
	;; [unrolled: 1-line block ×3, first 2 shown]
	v_fmac_f16_e32 v83, -0.5, v6
	v_add_f16_e32 v6, v13, v18
	v_sub_f16_e32 v18, v18, v21
	v_add_f16_e32 v14, v14, v22
	v_fmac_f16_e32 v84, -0.5, v19
	v_fmac_f16_e32 v85, -0.5, v38
	v_sub_f16_e32 v19, v54, v51
	v_add_f16_e32 v22, v8, v16
	v_sub_f16_e32 v16, v16, v86
	v_fmac_f16_e32 v11, -0.5, v0
	v_fma_f16 v10, -0.5, v41, v10
	v_fmac_f16_e32 v13, -0.5, v4
	v_sub_f16_e32 v40, v47, v50
	v_sub_f16_e32 v17, v17, v15
	v_fma_f16 v12, -0.5, v43, v12
	v_fmac_f16_e32 v8, -0.5, v26
	v_add_f16_e32 v3, v3, v52
	v_add_f16_e32 v15, v37, v15
	v_fmamk_f16 v4, v18, 0x3aee, v83
	v_fmac_f16_e32 v83, 0xbaee, v18
	v_add_f16_e32 v18, v42, v51
	v_fmamk_f16 v37, v19, 0x3aee, v82
	v_add_f16_e32 v6, v6, v21
	v_fmamk_f16 v21, v16, 0x3aee, v85
	v_fmac_f16_e32 v85, 0xbaee, v16
	v_fmamk_f16 v16, v2, 0xbaee, v11
	v_fmac_f16_e32 v11, 0x3aee, v2
	;; [unrolled: 2-line block ×4, first 2 shown]
	v_fmac_f16_e32 v10, 0x3aee, v5
	v_add_f16_e32 v1, v1, v49
	v_fmamk_f16 v0, v40, 0x3aee, v56
	v_add_f16_e32 v19, v39, v50
	v_fmac_f16_e32 v56, 0xbaee, v40
	v_add_f16_e32 v23, v44, v23
	v_fmamk_f16 v38, v20, 0x3aee, v84
	v_fmac_f16_e32 v84, 0xbaee, v20
	v_add_f16_e32 v20, v22, v86
	v_fmamk_f16 v5, v25, 0xbaee, v12
	v_fmamk_f16 v22, v17, 0xbaee, v8
	v_fmac_f16_e32 v12, 0x3aee, v25
	v_fmac_f16_e32 v8, 0x3aee, v17
	v_pack_b32_f16 v3, v18, v3
	v_pack_b32_f16 v9, v9, v37
	;; [unrolled: 1-line block ×15, first 2 shown]
	ds_write2_b32 v57, v3, v9 offset1:225
	ds_write_b32 v57, v10 offset:1800
	ds_write2_b32 v91, v1, v0 offset1:225
	ds_write_b32 v91, v11 offset:1800
	ds_write2_b32 v94, v14, v5 offset0:16 offset1:241
	ds_write_b32 v57, v12 offset:4680
	ds_write2_b32 v93, v6, v2 offset1:225
	ds_write_b32 v93, v13 offset:1800
	ds_write2_b32 v95, v7, v4 offset0:6 offset1:231
	ds_write_b32 v92, v8 offset:7200
	s_waitcnt lgkmcnt(0)
	s_barrier
	buffer_gl0_inv
	ds_read2_b32 v[0:1], v57 offset1:135
	ds_read2_b32 v[2:3], v74 offset0:56 offset1:191
	ds_read_b32 v10, v57 offset:7560
	ds_read2_b32 v[4:5], v75 offset0:84 offset1:219
	ds_read2_b32 v[11:12], v77 offset0:42 offset1:177
	ds_read2_b32 v[13:14], v79 offset0:28 offset1:163
	ds_read2_b32 v[15:16], v78 offset0:70 offset1:205
	ds_read2_b32 v[17:18], v76 offset0:14 offset1:149
	v_mad_u64_u32 v[8:9], null, s18, v24, 0
	v_mad_u64_u32 v[6:7], null, s16, v72, 0
	s_waitcnt lgkmcnt(7)
	v_lshrrev_b32_e32 v51, 16, v1
	s_waitcnt lgkmcnt(6)
	v_lshrrev_b32_e32 v20, 16, v3
	;; [unrolled: 2-line block ×3, first 2 shown]
	v_mul_f16_sdwa v22, v27, v3 dst_sel:DWORD dst_unused:UNUSED_PAD src0_sel:WORD_1 src1_sel:DWORD
	s_waitcnt lgkmcnt(4)
	v_lshrrev_b32_e32 v23, 16, v4
	v_mul_f16_sdwa v25, v28, v10 dst_sel:DWORD dst_unused:UNUSED_PAD src0_sel:WORD_1 src1_sel:DWORD
	v_lshrrev_b32_e32 v26, 16, v2
	v_lshrrev_b32_e32 v37, 16, v5
	v_mul_f16_sdwa v38, v35, v2 dst_sel:DWORD dst_unused:UNUSED_PAD src0_sel:WORD_1 src1_sel:DWORD
	v_mul_f16_sdwa v39, v36, v5 dst_sel:DWORD dst_unused:UNUSED_PAD src0_sel:WORD_1 src1_sel:DWORD
	s_waitcnt lgkmcnt(3)
	v_lshrrev_b32_e32 v40, 16, v11
	v_lshrrev_b32_e32 v41, 16, v12
	v_mul_f16_sdwa v42, v33, v12 dst_sel:DWORD dst_unused:UNUSED_PAD src0_sel:WORD_1 src1_sel:DWORD
	v_mul_f16_sdwa v43, v34, v4 dst_sel:DWORD dst_unused:UNUSED_PAD src0_sel:WORD_1 src1_sel:DWORD
	s_waitcnt lgkmcnt(2)
	v_lshrrev_b32_e32 v44, 16, v14
	s_waitcnt lgkmcnt(1)
	v_lshrrev_b32_e32 v45, 16, v16
	v_mul_f16_sdwa v46, v31, v11 dst_sel:DWORD dst_unused:UNUSED_PAD src0_sel:WORD_1 src1_sel:DWORD
	v_mul_f16_sdwa v47, v32, v16 dst_sel:DWORD dst_unused:UNUSED_PAD src0_sel:WORD_1 src1_sel:DWORD
	v_lshrrev_b32_e32 v48, 16, v15
	v_mul_f16_sdwa v49, v29, v14 dst_sel:DWORD dst_unused:UNUSED_PAD src0_sel:WORD_1 src1_sel:DWORD
	v_mul_f16_sdwa v50, v30, v15 dst_sel:DWORD dst_unused:UNUSED_PAD src0_sel:WORD_1 src1_sel:DWORD
	s_waitcnt lgkmcnt(0)
	v_lshrrev_b32_e32 v52, 16, v17
	v_lshrrev_b32_e32 v54, 16, v13
	v_mul_f16_sdwa v55, v28, v21 dst_sel:DWORD dst_unused:UNUSED_PAD src0_sel:WORD_1 src1_sel:DWORD
	v_fma_f16 v22, v27, v20, -v22
	v_fma_f16 v21, v28, v21, -v25
	v_mul_f16_sdwa v25, v35, v26 dst_sel:DWORD dst_unused:UNUSED_PAD src0_sel:WORD_1 src1_sel:DWORD
	v_mul_f16_sdwa v56, v36, v37 dst_sel:DWORD dst_unused:UNUSED_PAD src0_sel:WORD_1 src1_sel:DWORD
	v_fma_f16 v26, v35, v26, -v38
	v_mul_f16_sdwa v38, v34, v23 dst_sel:DWORD dst_unused:UNUSED_PAD src0_sel:WORD_1 src1_sel:DWORD
	v_fma_f16 v37, v36, v37, -v39
	;; [unrolled: 2-line block ×5, first 2 shown]
	v_fma_f16 v45, v32, v45, -v47
	v_mul_f16_sdwa v46, v30, v48 dst_sel:DWORD dst_unused:UNUSED_PAD src0_sel:WORD_1 src1_sel:DWORD
	v_fma_f16 v47, v29, v44, -v49
	v_mul_f16_sdwa v44, v29, v44 dst_sel:DWORD dst_unused:UNUSED_PAD src0_sel:WORD_1 src1_sel:DWORD
	;; [unrolled: 2-line block ×3, first 2 shown]
	v_lshrrev_b32_e32 v19, 16, v0
	v_lshrrev_b32_e32 v53, 16, v18
	v_fmac_f16_e32 v55, v28, v10
	v_fmac_f16_e32 v56, v36, v5
	;; [unrolled: 1-line block ×6, first 2 shown]
	v_add_f16_e32 v4, v47, v48
	v_add_f16_e32 v5, v51, v40
	;; [unrolled: 1-line block ×4, first 2 shown]
	v_fmac_f16_e32 v20, v27, v3
	v_fmac_f16_e32 v42, v31, v11
	;; [unrolled: 1-line block ×3, first 2 shown]
	v_add_f16_e32 v27, v26, v37
	v_fmac_f16_e32 v25, v35, v2
	v_add_f16_e32 v2, v19, v47
	v_add_f16_e32 v11, v40, v45
	;; [unrolled: 1-line block ×5, first 2 shown]
	v_sub_f16_e32 v22, v22, v21
	v_fmac_f16_e32 v19, -0.5, v4
	v_add_f16_e32 v4, v5, v45
	v_add_f16_e32 v5, v12, v23
	;; [unrolled: 1-line block ×4, first 2 shown]
	v_fmac_f16_e32 v53, -0.5, v27
	v_add_f16_e32 v27, v42, v43
	v_add_f16_e32 v31, v39, v38
	v_sub_f16_e32 v3, v47, v48
	v_fmac_f16_e32 v51, -0.5, v11
	v_fmac_f16_e32 v52, -0.5, v14
	v_add_f16_e32 v11, v16, v37
	v_add_f16_e32 v14, v0, v44
	v_fmac_f16_e32 v54, -0.5, v29
	v_sub_f16_e32 v16, v44, v46
	v_add_f16_e32 v33, v25, v56
	v_add_f16_e32 v34, v13, v20
	;; [unrolled: 1-line block ×3, first 2 shown]
	v_sub_f16_e32 v20, v20, v55
	v_fma_f16 v0, -0.5, v21, v0
	v_sub_f16_e32 v15, v41, v23
	v_add_f16_e32 v23, v1, v42
	v_sub_f16_e32 v10, v40, v45
	v_sub_f16_e32 v28, v42, v43
	v_add_f16_e32 v29, v17, v39
	v_sub_f16_e32 v30, v39, v38
	v_fmac_f16_e32 v1, -0.5, v27
	v_fma_f16 v17, -0.5, v31, v17
	v_add_f16_e32 v32, v18, v25
	v_sub_f16_e32 v26, v26, v37
	v_add_f16_e32 v2, v2, v48
	v_sub_f16_e32 v25, v25, v56
	v_add_f16_e32 v14, v14, v46
	v_fmamk_f16 v36, v16, 0x3aee, v19
	v_fmac_f16_e32 v18, -0.5, v33
	v_fmac_f16_e32 v13, -0.5, v35
	v_fmamk_f16 v21, v20, 0x3aee, v54
	v_fmac_f16_e32 v54, 0xbaee, v20
	v_fmamk_f16 v20, v3, 0xbaee, v0
	v_fmac_f16_e32 v19, 0xbaee, v16
	v_fmac_f16_e32 v0, 0x3aee, v3
	v_add_f16_e32 v16, v23, v43
	v_fmamk_f16 v23, v28, 0x3aee, v51
	v_fmac_f16_e32 v51, 0xbaee, v28
	v_fmamk_f16 v28, v30, 0x3aee, v52
	v_fmamk_f16 v3, v10, 0xbaee, v1
	v_fmac_f16_e32 v1, 0x3aee, v10
	v_fmamk_f16 v10, v15, 0xbaee, v17
	v_add_f16_e32 v27, v29, v38
	v_fmac_f16_e32 v52, 0xbaee, v30
	v_add_f16_e32 v29, v32, v56
	v_fmac_f16_e32 v17, 0x3aee, v15
	v_fmamk_f16 v30, v25, 0x3aee, v53
	v_fmac_f16_e32 v53, 0xbaee, v25
	v_add_f16_e32 v25, v34, v55
	v_fmamk_f16 v15, v26, 0xbaee, v18
	v_fmac_f16_e32 v18, 0x3aee, v26
	v_fmamk_f16 v26, v22, 0xbaee, v13
	v_fmac_f16_e32 v13, 0x3aee, v22
	v_pack_b32_f16 v2, v14, v2
	v_pack_b32_f16 v14, v20, v36
	;; [unrolled: 1-line block ×15, first 2 shown]
	ds_write_b32 v57, v14 offset:2700
	ds_write_b32 v57, v0 offset:5400
	ds_write2_b32 v57, v2, v4 offset1:135
	ds_write2_b32 v77, v3, v10 offset0:42 offset1:177
	ds_write2_b32 v81, v1, v16 offset0:77 offset1:212
	;; [unrolled: 1-line block ×3, first 2 shown]
	ds_write_b32 v57, v12 offset:2160
	ds_write2_b32 v74, v15, v18 offset0:56 offset1:191
	ds_write2_b32 v80, v17, v13 offset0:91 offset1:226
	s_waitcnt lgkmcnt(0)
	s_barrier
	buffer_gl0_inv
	ds_read2_b32 v[10:11], v57 offset1:135
	ds_read2_b32 v[0:1], v79 offset0:28 offset1:163
	ds_read2_b32 v[4:5], v78 offset0:70 offset1:205
	ds_read2_b32 v[2:3], v77 offset0:42 offset1:177
	s_waitcnt lgkmcnt(3)
	v_mad_u64_u32 v[12:13], null, s19, v24, v[9:10]
	v_mad_u64_u32 v[13:14], null, s17, v72, v[7:8]
	s_waitcnt lgkmcnt(1)
	v_lshrrev_b32_e32 v15, 16, v4
	v_mul_f16_sdwa v16, v71, v4 dst_sel:DWORD dst_unused:UNUSED_PAD src0_sel:WORD_1 src1_sel:DWORD
	v_lshrrev_b32_e32 v14, 16, v1
	v_lshrrev_b32_e32 v17, 16, v11
	v_mov_b32_e32 v9, v12
	v_lshrrev_b32_e32 v12, 16, v10
	v_mov_b32_e32 v7, v13
	v_mul_f16_sdwa v13, v69, v10 dst_sel:DWORD dst_unused:UNUSED_PAD src0_sel:WORD_1 src1_sel:DWORD
	v_mul_f16_sdwa v18, v73, v11 dst_sel:DWORD dst_unused:UNUSED_PAD src0_sel:WORD_1 src1_sel:DWORD
	;; [unrolled: 1-line block ×5, first 2 shown]
	v_fma_f16 v12, v69, v12, -v13
	v_fma_f16 v13, v71, v15, -v16
	v_mul_f16_sdwa v22, v71, v15 dst_sel:DWORD dst_unused:UNUSED_PAD src0_sel:WORD_1 src1_sel:DWORD
	v_fma_f16 v15, v73, v17, -v18
	v_fma_f16 v14, v70, v14, -v19
	v_cvt_f32_f16_e32 v12, v12
	v_cvt_f32_f16_e32 v16, v13
	v_mul_f16_sdwa v23, v73, v17 dst_sel:DWORD dst_unused:UNUSED_PAD src0_sel:WORD_1 src1_sel:DWORD
	v_cvt_f32_f16_e32 v17, v15
	v_cvt_f32_f16_e32 v18, v14
	v_cvt_f64_f32_e32 v[12:13], v12
	v_cvt_f64_f32_e32 v[14:15], v16
	v_fmac_f16_e32 v20, v69, v10
	v_cvt_f64_f32_e32 v[16:17], v17
	s_waitcnt lgkmcnt(0)
	v_lshrrev_b32_e32 v26, 16, v2
	v_fmac_f16_e32 v21, v70, v1
	v_cvt_f64_f32_e32 v[18:19], v18
	v_cvt_f32_f16_e32 v1, v20
	s_mov_b32 s18, 0xc0898b71
	v_lshlrev_b64 v[8:9], 2, v[8:9]
	s_mov_b32 s19, 0x3f402e85
	v_mul_f16_sdwa v24, v68, v26 dst_sel:DWORD dst_unused:UNUSED_PAD src0_sel:WORD_1 src1_sel:DWORD
	v_fmac_f16_e32 v22, v71, v4
	v_fmac_f16_e32 v23, v73, v11
	v_cvt_f32_f16_e32 v4, v21
	v_cvt_f64_f32_e32 v[10:11], v1
	v_fmac_f16_e32 v24, v68, v2
	v_cvt_f32_f16_e32 v20, v22
	v_mul_f16_sdwa v27, v68, v2 dst_sel:DWORD dst_unused:UNUSED_PAD src0_sel:WORD_1 src1_sel:DWORD
	v_cvt_f64_f32_e32 v[1:2], v4
	v_add_co_u32 v4, vcc_lo, s0, v8
	v_mul_f64 v[12:13], v[12:13], s[18:19]
	v_add_co_ci_u32_e32 v28, vcc_lo, s1, v9, vcc_lo
	v_mul_f64 v[8:9], v[14:15], s[18:19]
	v_cvt_f32_f16_e32 v22, v23
	v_cvt_f64_f32_e32 v[20:21], v20
	v_mul_f64 v[14:15], v[16:17], s[18:19]
	v_lshlrev_b64 v[6:7], 2, v[6:7]
	v_fma_f16 v26, v68, v26, -v27
	v_cvt_f64_f32_e32 v[22:23], v22
	v_mul_f64 v[16:17], v[18:19], s[18:19]
	v_cvt_f32_f16_e32 v24, v24
	v_add_co_u32 v18, vcc_lo, v4, v6
	v_cvt_f32_f16_e32 v4, v26
	v_mul_f64 v[10:11], v[10:11], s[18:19]
	v_add_co_ci_u32_e32 v19, vcc_lo, v28, v7, vcc_lo
	v_add_co_u32 v26, vcc_lo, v18, s20
	v_cvt_f64_f32_e32 v[28:29], v4
	v_and_or_b32 v4, 0x1ff, v13, v12
	v_mul_f64 v[1:2], v[1:2], s[18:19]
	v_add_co_ci_u32_e32 v27, vcc_lo, s15, v19, vcc_lo
	v_and_or_b32 v8, 0x1ff, v9, v8
	v_cmp_ne_u32_e32 vcc_lo, 0, v4
	v_mul_f64 v[20:21], v[20:21], s[18:19]
	v_and_or_b32 v14, 0x1ff, v15, v14
	v_cvt_f64_f32_e32 v[24:25], v24
	v_mul_f64 v[22:23], v[22:23], s[18:19]
	v_cndmask_b32_e64 v4, 0, 1, vcc_lo
	v_cmp_ne_u32_e32 vcc_lo, 0, v8
	v_and_or_b32 v16, 0x1ff, v17, v16
	v_lshrrev_b32_e32 v12, 8, v13
	v_lshrrev_b32_e32 v31, 8, v15
	;; [unrolled: 1-line block ×3, first 2 shown]
	v_cndmask_b32_e64 v8, 0, 1, vcc_lo
	v_cmp_ne_u32_e32 vcc_lo, 0, v14
	v_and_or_b32 v10, 0x1ff, v11, v10
	v_bfe_u32 v36, v11, 20, 11
	v_and_or_b32 v4, 0xffe, v12, v4
	v_bfe_u32 v34, v17, 20, 11
	v_cndmask_b32_e64 v14, 0, 1, vcc_lo
	v_cmp_ne_u32_e32 vcc_lo, 0, v16
	v_and_or_b32 v1, 0x1ff, v2, v1
	v_sub_nc_u32_e32 v47, 0x3f1, v36
	v_bfe_u32 v30, v9, 20, 11
	v_and_or_b32 v12, 0xffe, v31, v14
	v_cndmask_b32_e64 v16, 0, 1, vcc_lo
	v_cmp_ne_u32_e32 vcc_lo, 0, v10
	v_and_or_b32 v20, 0x1ff, v21, v20
	v_and_or_b32 v22, 0x1ff, v23, v22
	v_mul_f64 v[6:7], v[24:25], s[18:19]
	v_bfe_u32 v24, v13, 20, 11
	v_cndmask_b32_e64 v10, 0, 1, vcc_lo
	v_cmp_ne_u32_e32 vcc_lo, 0, v1
	v_lshrrev_b32_e32 v25, 8, v9
	v_lshrrev_b32_e32 v40, 8, v21
	v_sub_nc_u32_e32 v37, 0x3f1, v24
	v_add_nc_u32_e32 v24, 0xfffffc10, v24
	v_cndmask_b32_e64 v1, 0, 1, vcc_lo
	v_cmp_ne_u32_e32 vcc_lo, 0, v20
	v_and_or_b32 v16, 0xffe, v33, v16
	v_lshrrev_b32_e32 v35, 8, v11
	v_lshrrev_b32_e32 v38, 8, v2
	v_bfe_u32 v39, v2, 20, 11
	v_cndmask_b32_e64 v14, 0, 1, vcc_lo
	v_cmp_ne_u32_e32 vcc_lo, 0, v22
	v_bfe_u32 v43, v21, 20, 11
	v_lshrrev_b32_e32 v44, 8, v23
	v_sub_nc_u32_e32 v46, 0x3f1, v34
	v_add_nc_u32_e32 v34, 0xfffffc10, v34
	v_cndmask_b32_e64 v20, 0, 1, vcc_lo
	v_cmp_ne_u32_e32 vcc_lo, 0, v4
	v_and_or_b32 v8, 0xffe, v25, v8
	v_med3_i32 v22, v47, 0, 13
	v_or_b32_e32 v47, 0x1000, v4
	v_and_or_b32 v14, 0xffe, v40, v14
	v_lshl_or_b32 v40, v24, 12, v4
	v_cndmask_b32_e64 v4, 0, 1, vcc_lo
	v_cmp_ne_u32_e32 vcc_lo, 0, v16
	v_sub_nc_u32_e32 v41, 0x3f1, v30
	v_add_nc_u32_e32 v30, 0xfffffc10, v30
	v_sub_nc_u32_e32 v48, 0x3f1, v39
	v_sub_nc_u32_e32 v49, 0x3f1, v43
	v_and_or_b32 v10, 0xffe, v35, v10
	v_and_or_b32 v1, 0xffe, v38, v1
	;; [unrolled: 1-line block ×3, first 2 shown]
	v_or_b32_e32 v38, 0x1000, v16
	v_lshl_or_b32 v44, v34, 12, v16
	v_cndmask_b32_e64 v16, 0, 1, vcc_lo
	v_cmp_ne_u32_e32 vcc_lo, 0, v8
	v_add_nc_u32_e32 v36, 0xfffffc10, v36
	v_med3_i32 v25, v48, 0, 13
	v_med3_i32 v31, v49, 0, 13
	v_or_b32_e32 v48, 0x1000, v8
	v_lshl_or_b32 v49, v30, 12, v8
	v_cndmask_b32_e64 v8, 0, 1, vcc_lo
	v_cmp_ne_u32_e32 vcc_lo, 0, v10
	v_med3_i32 v37, v37, 0, 13
	v_add_nc_u32_e32 v39, 0xfffffc10, v39
	v_or_b32_e32 v53, 0x1000, v10
	v_lshl_or_b32 v70, v36, 12, v10
	v_cndmask_b32_e64 v10, 0, 1, vcc_lo
	v_cmp_ne_u32_e32 vcc_lo, 0, v1
	v_bfe_u32 v32, v15, 20, 11
	v_bfe_u32 v45, v23, 20, 11
	v_med3_i32 v46, v46, 0, 13
	v_add_nc_u32_e32 v43, 0xfffffc10, v43
	v_lshrrev_b32_e32 v51, v37, v47
	v_or_b32_e32 v55, 0x1000, v1
	v_lshl_or_b32 v71, v39, 12, v1
	v_cndmask_b32_e64 v1, 0, 1, vcc_lo
	v_cmp_ne_u32_e32 vcc_lo, 0, v14
	v_sub_nc_u32_e32 v42, 0x3f1, v32
	v_med3_i32 v41, v41, 0, 13
	v_sub_nc_u32_e32 v50, 0x3f1, v45
	v_add_nc_u32_e32 v45, 0xfffffc10, v45
	v_or_b32_e32 v56, 0x1000, v14
	v_lshrrev_b32_e32 v69, v46, v38
	v_lshl_or_b32 v72, v43, 12, v14
	v_cndmask_b32_e64 v14, 0, 1, vcc_lo
	v_cmp_ne_u32_e32 vcc_lo, 0, v20
	v_lshlrev_b32_e32 v37, v37, v51
	v_med3_i32 v42, v42, 0, 13
	v_or_b32_e32 v35, 0x1000, v12
	v_lshrrev_b32_e32 v52, v41, v48
	v_or_b32_e32 v68, 0x1000, v20
	v_lshl_or_b32 v73, v45, 12, v20
	v_cndmask_b32_e64 v20, 0, 1, vcc_lo
	v_lshlrev_b32_e32 v46, v46, v69
	v_cmp_ne_u32_e32 vcc_lo, v37, v47
	v_lshrrev_b32_e32 v54, v42, v35
	v_lshlrev_b32_e32 v41, v41, v52
	v_lshrrev_b32_e32 v77, v22, v53
	v_lshrrev_b32_e32 v78, v25, v55
	v_cndmask_b32_e64 v37, 0, 1, vcc_lo
	v_cmp_ne_u32_e32 vcc_lo, v46, v38
	v_lshlrev_b32_e32 v42, v42, v54
	v_lshlrev_b32_e32 v22, v22, v77
	v_med3_i32 v33, v50, 0, 13
	v_lshrrev_b32_e32 v79, v31, v56
	v_cndmask_b32_e64 v38, 0, 1, vcc_lo
	v_cmp_ne_u32_e32 vcc_lo, v41, v48
	v_lshlrev_b32_e32 v25, v25, v78
	v_lshrrev_b32_e32 v80, v33, v68
	v_lshlrev_b32_e32 v31, v31, v79
	v_or_b32_e32 v37, v51, v37
	v_cndmask_b32_e64 v41, 0, 1, vcc_lo
	v_cmp_ne_u32_e32 vcc_lo, v42, v35
	v_lshlrev_b32_e32 v33, v33, v80
	v_or_b32_e32 v38, v69, v38
	v_add_nc_u32_e32 v32, 0xfffffc10, v32
	v_or_b32_e32 v41, v52, v41
	v_cndmask_b32_e64 v35, 0, 1, vcc_lo
	v_cmp_ne_u32_e32 vcc_lo, v22, v53
	v_lshl_or_b32 v10, v10, 9, 0x7c00
	v_lshl_or_b32 v50, v32, 12, v12
	;; [unrolled: 1-line block ×3, first 2 shown]
	v_or_b32_e32 v35, v54, v35
	v_cndmask_b32_e64 v22, 0, 1, vcc_lo
	v_cmp_ne_u32_e32 vcc_lo, v25, v55
	v_lshl_or_b32 v16, v16, 9, 0x7c00
	v_lshl_or_b32 v1, v1, 9, 0x7c00
	;; [unrolled: 1-line block ×3, first 2 shown]
	v_or_b32_e32 v22, v77, v22
	v_cndmask_b32_e64 v25, 0, 1, vcc_lo
	v_cmp_ne_u32_e32 vcc_lo, v31, v56
	v_lshrrev_b32_e32 v11, 16, v11
	v_lshl_or_b32 v14, v14, 9, 0x7c00
	v_lshrrev_b32_e32 v13, 16, v13
	v_or_b32_e32 v25, v78, v25
	v_cndmask_b32_e64 v31, 0, 1, vcc_lo
	v_cmp_ne_u32_e32 vcc_lo, v33, v68
	v_lshrrev_b32_e32 v2, 16, v2
	v_lshl_or_b32 v20, v20, 9, 0x7c00
	v_and_or_b32 v6, 0x1ff, v7, v6
	v_or_b32_e32 v31, v79, v31
	v_cndmask_b32_e64 v33, 0, 1, vcc_lo
	v_cmp_gt_i32_e32 vcc_lo, 1, v24
	v_lshrrev_b32_e32 v17, 16, v17
	v_lshrrev_b32_e32 v9, 16, v9
	;; [unrolled: 1-line block ×3, first 2 shown]
	v_or_b32_e32 v33, v80, v33
	v_cndmask_b32_e32 v37, v40, v37, vcc_lo
	v_cmp_gt_i32_e32 vcc_lo, 1, v34
	v_cndmask_b32_e32 v38, v44, v38, vcc_lo
	v_cmp_gt_i32_e32 vcc_lo, 1, v30
	v_and_b32_e32 v42, 7, v38
	v_cndmask_b32_e32 v40, v49, v41, vcc_lo
	v_cmp_gt_i32_e32 vcc_lo, 1, v32
	v_and_b32_e32 v41, 7, v37
	v_lshrrev_b32_e32 v37, 2, v37
	v_cmp_lt_i32_e64 s1, 5, v42
	v_and_b32_e32 v44, 7, v40
	v_cndmask_b32_e32 v35, v50, v35, vcc_lo
	v_cmp_gt_i32_e32 vcc_lo, 1, v36
	v_cmp_eq_u32_e64 s0, 3, v41
	v_cmp_eq_u32_e64 s2, 3, v42
	v_lshrrev_b32_e32 v38, 2, v38
	v_cmp_lt_i32_e64 s3, 5, v44
	v_cndmask_b32_e32 v22, v70, v22, vcc_lo
	v_cmp_gt_i32_e32 vcc_lo, 1, v39
	v_cmp_eq_u32_e64 s4, 3, v44
	v_lshrrev_b32_e32 v40, 2, v40
	v_and_b32_e32 v46, 7, v35
	v_lshrrev_b32_e32 v35, 2, v35
	v_cndmask_b32_e32 v25, v71, v25, vcc_lo
	v_cmp_gt_i32_e32 vcc_lo, 1, v43
	v_cmp_lt_i32_e64 s5, 5, v46
	v_cmp_eq_u32_e64 s6, 3, v46
	v_and_b32_e32 v42, 7, v25
	v_cndmask_b32_e32 v31, v72, v31, vcc_lo
	v_cmp_gt_i32_e32 vcc_lo, 1, v45
	v_lshrrev_b32_e32 v25, 2, v25
	v_cmp_lt_i32_e64 s9, 5, v42
	v_and_b32_e32 v44, 7, v31
	v_cndmask_b32_e32 v33, v73, v33, vcc_lo
	v_cmp_lt_i32_e32 vcc_lo, 5, v41
	v_and_b32_e32 v41, 7, v22
	v_lshrrev_b32_e32 v22, 2, v22
	v_cmp_eq_u32_e64 s10, 3, v42
	v_cmp_lt_i32_e64 s11, 5, v44
	s_or_b32 vcc_lo, s0, vcc_lo
	v_cmp_lt_i32_e64 s7, 5, v41
	v_add_co_ci_u32_e32 v37, vcc_lo, 0, v37, vcc_lo
	s_or_b32 vcc_lo, s2, s1
	v_cmp_eq_u32_e64 s8, 3, v41
	v_add_co_ci_u32_e32 v38, vcc_lo, 0, v38, vcc_lo
	s_or_b32 vcc_lo, s4, s3
	v_cmp_eq_u32_e64 s12, 3, v44
	v_add_co_ci_u32_e32 v40, vcc_lo, 0, v40, vcc_lo
	v_cmp_gt_i32_e32 vcc_lo, 31, v24
	v_lshrrev_b32_e32 v31, 2, v31
	v_and_b32_e32 v47, 7, v33
	v_lshrrev_b32_e32 v33, 2, v33
	s_mul_hi_u32 s0, s16, 0xffffed04
	v_cndmask_b32_e32 v37, 0x7c00, v37, vcc_lo
	v_cmp_gt_i32_e32 vcc_lo, 31, v34
	v_cmp_lt_i32_e64 s13, 5, v47
	v_cmp_eq_u32_e64 s14, 3, v47
	s_sub_i32 s2, s0, s16
	s_mul_i32 s1, s17, 0xffffed04
	v_cndmask_b32_e32 v38, 0x7c00, v38, vcc_lo
	s_or_b32 vcc_lo, s8, s7
	s_mul_i32 s3, s16, 0xffffed04
	v_add_co_ci_u32_e32 v22, vcc_lo, 0, v22, vcc_lo
	s_or_b32 vcc_lo, s10, s9
	s_add_i32 s2, s2, s1
	v_add_co_ci_u32_e32 v25, vcc_lo, 0, v25, vcc_lo
	s_or_b32 vcc_lo, s12, s11
	v_add_co_ci_u32_e32 v31, vcc_lo, 0, v31, vcc_lo
	v_cmp_gt_i32_e32 vcc_lo, 31, v36
	v_cndmask_b32_e32 v22, 0x7c00, v22, vcc_lo
	v_cmp_gt_i32_e32 vcc_lo, 31, v30
	v_cndmask_b32_e32 v40, 0x7c00, v40, vcc_lo
	s_or_b32 vcc_lo, s14, s13
	v_add_co_ci_u32_e32 v33, vcc_lo, 0, v33, vcc_lo
	v_cmp_gt_i32_e32 vcc_lo, 31, v39
	v_cndmask_b32_e32 v25, 0x7c00, v25, vcc_lo
	v_cmp_eq_u32_e32 vcc_lo, 0x40f, v36
	v_cndmask_b32_e32 v10, v22, v10, vcc_lo
	v_cmp_eq_u32_e32 vcc_lo, 0x40f, v24
	v_and_or_b32 v10, 0x8000, v11, v10
	v_cndmask_b32_e32 v4, v37, v4, vcc_lo
	v_cmp_eq_u32_e32 vcc_lo, 0x40f, v34
	v_and_or_b32 v4, 0x8000, v13, v4
	v_cndmask_b32_e32 v16, v38, v16, vcc_lo
	v_cmp_gt_i32_e32 vcc_lo, 31, v43
	v_and_or_b32 v13, 0x8000, v17, v16
	v_cndmask_b32_e32 v22, 0x7c00, v31, vcc_lo
	v_cmp_eq_u32_e32 vcc_lo, 0x40f, v39
	v_cndmask_b32_e32 v1, v25, v1, vcc_lo
	v_cmp_eq_u32_e32 vcc_lo, 0x40f, v30
	v_and_or_b32 v1, 0x8000, v2, v1
	v_cndmask_b32_e32 v8, v40, v8, vcc_lo
	v_cmp_eq_u32_e32 vcc_lo, 0x40f, v43
	v_and_b32_e32 v2, 0xffff, v10
	v_and_b32_e32 v1, 0xffff, v1
	v_cndmask_b32_e32 v11, v22, v14, vcc_lo
	v_cmp_gt_i32_e32 vcc_lo, 31, v45
	v_lshl_or_b32 v2, v4, 16, v2
	v_and_or_b32 v4, 0x8000, v9, v8
	v_lshrrev_b32_e32 v8, 8, v7
	v_lshl_or_b32 v1, v13, 16, v1
	v_cndmask_b32_e32 v10, 0x7c00, v33, vcc_lo
	v_cmp_eq_u32_e32 vcc_lo, 0x40f, v45
	global_store_dword v[18:19], v2, off
	v_bfe_u32 v13, v7, 20, 11
	v_lshrrev_b32_e32 v18, 16, v5
	v_and_or_b32 v11, 0x8000, v21, v11
	v_cndmask_b32_e32 v10, v10, v20, vcc_lo
	s_or_b32 vcc_lo, s6, s5
	v_lshrrev_b32_e32 v14, 16, v23
	v_add_co_ci_u32_e32 v2, vcc_lo, 0, v35, vcc_lo
	v_cmp_ne_u32_e32 vcc_lo, 0, v6
	v_mul_f16_sdwa v19, v67, v18 dst_sel:DWORD dst_unused:UNUSED_PAD src0_sel:WORD_1 src1_sel:DWORD
	v_and_b32_e32 v11, 0xffff, v11
	v_and_or_b32 v14, 0x8000, v14, v10
	global_store_dword v[26:27], v1, off
	v_cndmask_b32_e64 v6, 0, 1, vcc_lo
	v_cmp_ne_u32_e32 vcc_lo, 0, v12
	v_fmac_f16_e32 v19, v67, v5
	v_lshl_or_b32 v4, v4, 16, v11
	v_and_b32_e32 v14, 0xffff, v14
	v_and_or_b32 v16, 0xffe, v8, v6
	v_mul_f64 v[8:9], v[28:29], s[18:19]
	v_sub_nc_u32_e32 v6, 0x3f1, v13
	v_cndmask_b32_e64 v12, 0, 1, vcc_lo
	v_cmp_gt_i32_e32 vcc_lo, 31, v32
	v_or_b32_e32 v17, 0x1000, v16
	v_mul_f16_sdwa v5, v67, v5 dst_sel:DWORD dst_unused:UNUSED_PAD src0_sel:WORD_1 src1_sel:DWORD
	v_med3_i32 v6, v6, 0, 13
	v_lshl_or_b32 v12, v12, 9, 0x7c00
	v_cndmask_b32_e32 v2, 0x7c00, v2, vcc_lo
	v_cmp_eq_u32_e32 vcc_lo, 0x40f, v32
	v_lshrrev_b32_e32 v20, v6, v17
	v_cndmask_b32_e32 v2, v2, v12, vcc_lo
	v_lshrrev_b32_e32 v12, 16, v15
	v_cvt_f32_f16_e32 v15, v19
	v_lshlrev_b32_e32 v6, v6, v20
	v_add_co_u32 v10, vcc_lo, v26, s20
	v_and_or_b32 v12, 0x8000, v12, v2
	v_cvt_f64_f32_e32 v[1:2], v15
	v_add_co_ci_u32_e32 v11, vcc_lo, s15, v27, vcc_lo
	v_and_or_b32 v8, 0x1ff, v9, v8
	v_cmp_ne_u32_e32 vcc_lo, v6, v17
	v_lshl_or_b32 v17, v12, 16, v14
	global_store_dword v[10:11], v4, off
	v_add_nc_u32_e32 v4, 0xfffffc10, v13
	v_lshrrev_b32_e32 v12, 8, v9
	v_cndmask_b32_e64 v6, 0, 1, vcc_lo
	v_cmp_ne_u32_e32 vcc_lo, 0, v8
	v_bfe_u32 v19, v9, 20, 11
	v_lshl_or_b32 v13, v4, 12, v16
	v_lshrrev_b32_e32 v9, 16, v9
	v_or_b32_e32 v6, v20, v6
	v_cndmask_b32_e64 v8, 0, 1, vcc_lo
	v_cmp_gt_i32_e32 vcc_lo, 1, v4
	v_and_or_b32 v8, 0xffe, v12, v8
	v_sub_nc_u32_e32 v12, 0x3f1, v19
	v_cndmask_b32_e32 v6, v13, v6, vcc_lo
	v_add_nc_u32_e32 v19, 0xfffffc10, v19
	v_or_b32_e32 v20, 0x1000, v8
	v_med3_i32 v14, v12, 0, 13
	v_mul_f64 v[12:13], v[1:2], s[18:19]
	v_and_b32_e32 v1, 7, v6
	v_fma_f16 v2, v67, v18, -v5
	v_lshrrev_b32_e32 v22, 2, v6
	v_lshrrev_b32_e32 v18, v14, v20
	v_cmp_lt_i32_e32 vcc_lo, 5, v1
	v_cmp_eq_u32_e64 s0, 3, v1
	v_cvt_f32_f16_e32 v5, v2
	v_lshlrev_b32_e32 v21, v14, v18
	ds_read2_b32 v[1:2], v76 offset0:14 offset1:149
	s_or_b32 vcc_lo, s0, vcc_lo
	v_cvt_f64_f32_e32 v[14:15], v5
	v_add_co_ci_u32_e32 v22, vcc_lo, 0, v22, vcc_lo
	v_cmp_ne_u32_e32 vcc_lo, v21, v20
	v_add_co_u32 v5, s1, v10, s3
	v_add_co_ci_u32_e64 v6, s1, s2, v11, s1
	v_cndmask_b32_e64 v10, 0, 1, vcc_lo
	v_and_or_b32 v11, 0x1ff, v13, v12
	v_cmp_ne_u32_e32 vcc_lo, 0, v16
	v_lshl_or_b32 v16, v19, 12, v8
	v_lshrrev_b32_e32 v20, 8, v13
	v_or_b32_e32 v10, v18, v10
	v_bfe_u32 v21, v13, 20, 11
	v_cndmask_b32_e64 v12, 0, 1, vcc_lo
	v_cmp_ne_u32_e32 vcc_lo, 0, v11
	s_waitcnt lgkmcnt(0)
	v_lshrrev_b32_e32 v23, 16, v1
	v_cmp_eq_u32_e64 s1, 0x40f, v4
	global_store_dword v[5:6], v17, off
	v_lshl_or_b32 v12, v12, 9, 0x7c00
	v_cndmask_b32_e64 v18, 0, 1, vcc_lo
	v_cmp_gt_i32_e32 vcc_lo, 1, v19
	v_lshrrev_b32_e32 v13, 16, v13
	v_and_or_b32 v18, 0xffe, v20, v18
	v_cndmask_b32_e32 v16, v16, v10, vcc_lo
	v_cmp_gt_i32_e32 vcc_lo, 31, v4
	v_mul_f64 v[10:11], v[14:15], s[18:19]
	v_sub_nc_u32_e32 v14, 0x3f1, v21
	v_mul_f16_sdwa v15, v66, v23 dst_sel:DWORD dst_unused:UNUSED_PAD src0_sel:WORD_1 src1_sel:DWORD
	v_or_b32_e32 v24, 0x1000, v18
	v_cndmask_b32_e32 v20, 0x7c00, v22, vcc_lo
	v_and_b32_e32 v22, 7, v16
	v_med3_i32 v14, v14, 0, 13
	v_fmac_f16_e32 v15, v66, v1
	v_mul_f16_sdwa v1, v66, v1 dst_sel:DWORD dst_unused:UNUSED_PAD src0_sel:WORD_1 src1_sel:DWORD
	v_cndmask_b32_e64 v4, v20, v12, s1
	v_cmp_lt_i32_e32 vcc_lo, 5, v22
	v_cmp_eq_u32_e64 s0, 3, v22
	v_lshrrev_b32_e32 v12, 2, v16
	v_lshrrev_b32_e32 v22, v14, v24
	v_cvt_f32_f16_e32 v15, v15
	v_lshrrev_b32_e32 v20, 16, v7
	s_or_b32 vcc_lo, s0, vcc_lo
	v_fma_f16 v1, v66, v23, -v1
	v_add_co_ci_u32_e32 v12, vcc_lo, 0, v12, vcc_lo
	v_cmp_ne_u32_e32 vcc_lo, 0, v8
	v_lshlrev_b32_e32 v16, v14, v22
	v_cvt_f64_f32_e32 v[14:15], v15
	v_and_or_b32 v10, 0x1ff, v11, v10
	v_bfe_u32 v25, v11, 20, 11
	v_cndmask_b32_e64 v8, 0, 1, vcc_lo
	v_cmp_gt_i32_e32 vcc_lo, 31, v19
	v_cvt_f32_f16_e32 v1, v1
	v_and_or_b32 v4, 0x8000, v20, v4
	v_add_nc_u32_e32 v17, 0xfffffc10, v25
	v_cndmask_b32_e32 v12, 0x7c00, v12, vcc_lo
	v_cmp_ne_u32_e32 vcc_lo, v16, v24
	v_add_nc_u32_e32 v16, 0xfffffc10, v21
	v_lshrrev_b32_e32 v21, 8, v11
	v_lshl_or_b32 v24, v8, 9, 0x7c00
	v_lshrrev_b32_e32 v11, 16, v11
	v_cndmask_b32_e64 v7, 0, 1, vcc_lo
	v_cmp_ne_u32_e32 vcc_lo, 0, v10
	v_lshl_or_b32 v26, v16, 12, v18
	v_or_b32_e32 v22, v22, v7
	v_cndmask_b32_e64 v10, 0, 1, vcc_lo
	v_cmp_eq_u32_e32 vcc_lo, 0x40f, v19
	v_mul_f64 v[7:8], v[14:15], s[18:19]
	v_and_or_b32 v21, 0xffe, v21, v10
	v_sub_nc_u32_e32 v10, 0x3f1, v25
	v_cndmask_b32_e32 v12, v12, v24, vcc_lo
	v_cmp_gt_i32_e32 vcc_lo, 1, v16
	v_or_b32_e32 v15, 0x1000, v21
	v_med3_i32 v19, v10, 0, 13
	v_and_or_b32 v12, 0x8000, v9, v12
	v_cndmask_b32_e32 v14, v26, v22, vcc_lo
	v_cvt_f64_f32_e32 v[9:10], v1
	v_and_b32_e32 v1, 0xffff, v4
	v_lshrrev_b32_e32 v22, v19, v15
	v_and_b32_e32 v20, 7, v14
	v_lshl_or_b32 v1, v12, 16, v1
	v_lshlrev_b32_e32 v4, v19, v22
	v_lshrrev_b32_e32 v12, 2, v14
	v_cmp_lt_i32_e32 vcc_lo, 5, v20
	v_cmp_eq_u32_e64 s0, 3, v20
	v_and_or_b32 v7, 0x1ff, v8, v7
	v_cmp_ne_u32_e64 s1, v4, v15
	v_lshrrev_b32_e32 v14, 8, v8
	v_bfe_u32 v19, v8, 20, 11
	s_or_b32 vcc_lo, s0, vcc_lo
	v_lshl_or_b32 v15, v17, 12, v21
	v_add_co_ci_u32_e32 v12, vcc_lo, 0, v12, vcc_lo
	v_cndmask_b32_e64 v4, 0, 1, s1
	v_cmp_ne_u32_e32 vcc_lo, 0, v7
	v_lshrrev_b32_e32 v20, 16, v3
	v_mul_f64 v[9:10], v[9:10], s[18:19]
	v_cmp_eq_u32_e64 s1, 0x40f, v16
	v_or_b32_e32 v4, v22, v4
	v_cndmask_b32_e64 v7, 0, 1, vcc_lo
	v_cmp_gt_i32_e32 vcc_lo, 1, v17
	v_mul_f16_sdwa v22, v65, v20 dst_sel:DWORD dst_unused:UNUSED_PAD src0_sel:WORD_1 src1_sel:DWORD
	v_lshrrev_b32_e32 v25, 16, v8
	v_and_or_b32 v7, 0xffe, v14, v7
	v_sub_nc_u32_e32 v14, 0x3f1, v19
	v_cndmask_b32_e32 v4, v15, v4, vcc_lo
	v_cmp_ne_u32_e32 vcc_lo, 0, v18
	v_fmac_f16_e32 v22, v65, v3
	v_or_b32_e32 v18, 0x1000, v7
	v_med3_i32 v23, v14, 0, 13
	v_and_b32_e32 v14, 7, v4
	v_cndmask_b32_e64 v15, 0, 1, vcc_lo
	v_cmp_gt_i32_e32 vcc_lo, 31, v16
	v_cvt_f32_f16_e32 v22, v22
	v_lshrrev_b32_e32 v4, 2, v4
	v_cmp_eq_u32_e64 s0, 3, v14
	v_lshl_or_b32 v15, v15, 9, 0x7c00
	v_cndmask_b32_e32 v12, 0x7c00, v12, vcc_lo
	v_cmp_lt_i32_e32 vcc_lo, 5, v14
	v_lshrrev_b32_e32 v24, v23, v18
	v_and_or_b32 v9, 0x1ff, v10, v9
	v_mul_f16_sdwa v3, v65, v3 dst_sel:DWORD dst_unused:UNUSED_PAD src0_sel:WORD_1 src1_sel:DWORD
	v_cndmask_b32_e64 v12, v12, v15, s1
	s_or_b32 vcc_lo, s0, vcc_lo
	v_cvt_f64_f32_e32 v[14:15], v22
	v_add_co_ci_u32_e32 v4, vcc_lo, 0, v4, vcc_lo
	v_lshlrev_b32_e32 v16, v23, v24
	v_cmp_ne_u32_e32 vcc_lo, 0, v21
	v_bfe_u32 v22, v10, 20, 11
	v_and_or_b32 v12, 0x8000, v13, v12
	v_fma_f16 v3, v65, v20, -v3
	v_cndmask_b32_e64 v21, 0, 1, vcc_lo
	v_cmp_ne_u32_e32 vcc_lo, v16, v18
	v_add_nc_u32_e32 v18, 0xfffffc10, v19
	v_lshrrev_b32_e32 v19, 8, v10
	v_cvt_f32_f16_e32 v3, v3
	v_lshl_or_b32 v21, v21, 9, 0x7c00
	v_cndmask_b32_e64 v16, 0, 1, vcc_lo
	v_cmp_ne_u32_e32 vcc_lo, 0, v9
	v_lshl_or_b32 v23, v18, 12, v7
	v_lshrrev_b32_e32 v10, 16, v10
	v_or_b32_e32 v16, v24, v16
	v_cndmask_b32_e64 v9, 0, 1, vcc_lo
	v_cmp_gt_i32_e32 vcc_lo, 31, v17
	v_mul_f64 v[14:15], v[14:15], s[18:19]
	v_and_or_b32 v9, 0xffe, v19, v9
	v_cndmask_b32_e32 v4, 0x7c00, v4, vcc_lo
	v_cmp_eq_u32_e32 vcc_lo, 0x40f, v17
	v_sub_nc_u32_e32 v19, 0x3f1, v22
	v_or_b32_e32 v24, 0x1000, v9
	v_cndmask_b32_e32 v4, v4, v21, vcc_lo
	v_cmp_gt_i32_e32 vcc_lo, 1, v18
	v_med3_i32 v19, v19, 0, 13
	v_and_or_b32 v20, 0x8000, v11, v4
	v_cndmask_b32_e32 v16, v23, v16, vcc_lo
	v_lshrrev_b32_e32 v17, v19, v24
	v_and_b32_e32 v13, 7, v16
	v_lshlrev_b32_e32 v4, v19, v17
	v_and_or_b32 v14, 0x1ff, v15, v14
	v_and_b32_e32 v19, 0xffff, v12
	v_cvt_f64_f32_e32 v[11:12], v3
	v_cmp_lt_i32_e32 vcc_lo, 5, v13
	v_cmp_eq_u32_e64 s0, 3, v13
	v_lshrrev_b32_e32 v13, 2, v16
	v_cmp_ne_u32_e64 s1, v4, v24
	v_add_nc_u32_e32 v16, 0xfffffc10, v22
	v_lshrrev_b32_e32 v22, 8, v15
	s_or_b32 vcc_lo, s0, vcc_lo
	v_bfe_u32 v23, v15, 20, 11
	v_add_co_ci_u32_e32 v13, vcc_lo, 0, v13, vcc_lo
	v_cndmask_b32_e64 v3, 0, 1, s1
	v_cmp_ne_u32_e32 vcc_lo, 0, v14
	v_lshl_or_b32 v21, v16, 12, v9
	v_lshl_or_b32 v19, v20, 16, v19
	v_lshrrev_b32_e32 v15, 16, v15
	v_or_b32_e32 v17, v17, v3
	v_cndmask_b32_e64 v14, 0, 1, vcc_lo
	v_cmp_ne_u32_e32 vcc_lo, 0, v7
	ds_read2_b32 v[3:4], v75 offset0:84 offset1:219
	v_mul_f64 v[11:12], v[11:12], s[18:19]
	v_cndmask_b32_e64 v7, 0, 1, vcc_lo
	v_cmp_gt_i32_e32 vcc_lo, 1, v16
	v_lshl_or_b32 v7, v7, 9, 0x7c00
	v_cndmask_b32_e32 v17, v21, v17, vcc_lo
	v_and_or_b32 v21, 0xffe, v22, v14
	v_sub_nc_u32_e32 v14, 0x3f1, v23
	v_cmp_gt_i32_e32 vcc_lo, 31, v18
	v_and_b32_e32 v24, 7, v17
	v_or_b32_e32 v22, 0x1000, v21
	v_med3_i32 v14, v14, 0, 13
	v_cndmask_b32_e32 v13, 0x7c00, v13, vcc_lo
	v_add_co_u32 v5, vcc_lo, v5, s20
	v_add_co_ci_u32_e32 v6, vcc_lo, s15, v6, vcc_lo
	v_lshrrev_b32_e32 v20, v14, v22
	v_cmp_eq_u32_e32 vcc_lo, 0x40f, v18
	s_waitcnt lgkmcnt(0)
	v_lshrrev_b32_e32 v18, 16, v3
	v_cmp_eq_u32_e64 s0, 3, v24
	v_and_or_b32 v11, 0x1ff, v12, v11
	v_lshlrev_b32_e32 v14, v14, v20
	v_cndmask_b32_e32 v13, v13, v7, vcc_lo
	v_cmp_lt_i32_e32 vcc_lo, 5, v24
	v_mul_f16_sdwa v24, v64, v18 dst_sel:DWORD dst_unused:UNUSED_PAD src0_sel:WORD_1 src1_sel:DWORD
	v_add_co_u32 v7, s1, v5, s20
	v_add_co_ci_u32_e64 v8, s1, s15, v6, s1
	v_fmac_f16_e32 v24, v64, v3
	v_cmp_ne_u32_e64 s1, v14, v22
	v_and_or_b32 v25, 0x8000, v25, v13
	v_lshrrev_b32_e32 v17, 2, v17
	v_add_nc_u32_e32 v22, 0xfffffc10, v23
	v_cvt_f32_f16_e32 v14, v24
	v_cndmask_b32_e64 v13, 0, 1, s1
	v_cmp_ne_u32_e64 s1, 0, v11
	s_or_b32 vcc_lo, s0, vcc_lo
	v_lshl_or_b32 v26, v22, 12, v21
	v_add_co_ci_u32_e32 v17, vcc_lo, 0, v17, vcc_lo
	v_or_b32_e32 v20, v20, v13
	v_cvt_f64_f32_e32 v[13:14], v14
	v_cmp_gt_i32_e32 vcc_lo, 1, v22
	v_cndmask_b32_e64 v11, 0, 1, s1
	v_lshrrev_b32_e32 v23, 8, v12
	v_bfe_u32 v24, v12, 20, 11
	v_mul_f16_sdwa v3, v64, v3 dst_sel:DWORD dst_unused:UNUSED_PAD src0_sel:WORD_1 src1_sel:DWORD
	v_cndmask_b32_e32 v20, v26, v20, vcc_lo
	v_cmp_ne_u32_e32 vcc_lo, 0, v9
	v_and_or_b32 v11, 0xffe, v23, v11
	v_sub_nc_u32_e32 v23, 0x3f1, v24
	v_fma_f16 v3, v64, v18, -v3
	v_and_b32_e32 v27, 7, v20
	v_cndmask_b32_e64 v9, 0, 1, vcc_lo
	v_cmp_gt_i32_e32 vcc_lo, 31, v16
	v_or_b32_e32 v26, 0x1000, v11
	v_med3_i32 v23, v23, 0, 13
	v_cvt_f32_f16_e32 v3, v3
	v_lshl_or_b32 v9, v9, 9, 0x7c00
	v_cndmask_b32_e32 v17, 0x7c00, v17, vcc_lo
	v_cmp_eq_u32_e64 s1, 0x40f, v16
	v_lshrrev_b32_e32 v28, v23, v26
	v_cmp_lt_i32_e32 vcc_lo, 5, v27
	v_mul_f64 v[13:14], v[13:14], s[18:19]
	v_cmp_eq_u32_e64 s0, 3, v27
	v_cndmask_b32_e64 v9, v17, v9, s1
	v_cvt_f64_f32_e32 v[16:17], v3
	v_lshrrev_b32_e32 v3, 2, v20
	v_lshlrev_b32_e32 v18, v23, v28
	s_or_b32 vcc_lo, s0, vcc_lo
	v_add_nc_u32_e32 v20, 0xfffffc10, v24
	v_and_b32_e32 v24, 0xffff, v25
	v_add_co_ci_u32_e32 v3, vcc_lo, 0, v3, vcc_lo
	v_cmp_ne_u32_e64 s1, v18, v26
	v_cmp_ne_u32_e32 vcc_lo, 0, v21
	v_lshl_or_b32 v23, v20, 12, v11
	global_store_dword v[5:6], v1, off
	global_store_dword v[7:8], v19, off
	v_cndmask_b32_e64 v18, 0, 1, s1
	v_cndmask_b32_e64 v21, 0, 1, vcc_lo
	v_cmp_gt_i32_e32 vcc_lo, 31, v22
	v_lshrrev_b32_e32 v12, 16, v12
	v_or_b32_e32 v18, v28, v18
	v_and_or_b32 v13, 0x1ff, v14, v13
	v_cndmask_b32_e32 v3, 0x7c00, v3, vcc_lo
	v_cmp_gt_i32_e32 vcc_lo, 1, v20
	v_lshl_or_b32 v21, v21, 9, 0x7c00
	v_lshrrev_b32_e32 v5, 8, v14
	v_cmp_ne_u32_e64 s1, 0, v13
	v_bfe_u32 v13, v14, 20, 11
	v_cndmask_b32_e32 v18, v23, v18, vcc_lo
	v_and_or_b32 v23, 0x8000, v10, v9
	v_mul_f64 v[9:10], v[16:17], s[18:19]
	v_cmp_eq_u32_e32 vcc_lo, 0x40f, v22
	v_cndmask_b32_e64 v1, 0, 1, s1
	v_and_b32_e32 v25, 7, v18
	v_lshrrev_b32_e32 v16, 16, v2
	v_lshrrev_b32_e32 v6, 2, v18
	v_cndmask_b32_e32 v3, v3, v21, vcc_lo
	v_and_or_b32 v17, 0xffe, v5, v1
	v_cmp_lt_i32_e32 vcc_lo, 5, v25
	v_cmp_eq_u32_e64 s0, 3, v25
	v_sub_nc_u32_e32 v1, 0x3f1, v13
	v_mul_f16_sdwa v5, v63, v16 dst_sel:DWORD dst_unused:UNUSED_PAD src0_sel:WORD_1 src1_sel:DWORD
	v_or_b32_e32 v18, 0x1000, v17
	v_and_or_b32 v15, 0x8000, v15, v3
	s_or_b32 vcc_lo, s0, vcc_lo
	v_med3_i32 v1, v1, 0, 13
	v_add_co_ci_u32_e32 v6, vcc_lo, 0, v6, vcc_lo
	v_cmp_ne_u32_e32 vcc_lo, 0, v11
	v_fmac_f16_e32 v5, v63, v2
	v_lshrrev_b32_e32 v21, v1, v18
	v_add_nc_u32_e32 v13, 0xfffffc10, v13
	v_and_or_b32 v9, 0x1ff, v10, v9
	v_cndmask_b32_e64 v11, 0, 1, vcc_lo
	v_cmp_gt_i32_e32 vcc_lo, 31, v20
	v_cvt_f32_f16_e32 v5, v5
	v_lshlrev_b32_e32 v1, v1, v21
	v_lshrrev_b32_e32 v22, 8, v10
	v_bfe_u32 v25, v10, 20, 11
	v_cndmask_b32_e32 v19, 0x7c00, v6, vcc_lo
	v_cmp_ne_u32_e32 vcc_lo, 0, v9
	v_cvt_f64_f32_e32 v[5:6], v5
	v_lshl_or_b32 v11, v11, 9, 0x7c00
	v_sub_nc_u32_e32 v3, 0x3f1, v25
	v_lshrrev_b32_e32 v14, 16, v14
	v_cndmask_b32_e64 v9, 0, 1, vcc_lo
	v_cmp_ne_u32_e32 vcc_lo, v1, v18
	v_add_co_u32 v7, s1, v7, s3
	v_add_co_ci_u32_e64 v8, s1, s2, v8, s1
	v_and_or_b32 v9, 0xffe, v22, v9
	v_cndmask_b32_e64 v1, 0, 1, vcc_lo
	v_cmp_eq_u32_e32 vcc_lo, 0x40f, v20
	v_med3_i32 v20, v3, 0, 13
	v_lshl_or_b32 v22, v23, 16, v24
	v_or_b32_e32 v18, 0x1000, v9
	v_or_b32_e32 v1, v21, v1
	v_cndmask_b32_e32 v11, v19, v11, vcc_lo
	v_lshl_or_b32 v19, v13, 12, v17
	v_cmp_gt_i32_e32 vcc_lo, 1, v13
	v_mul_f16_sdwa v21, v63, v2 dst_sel:DWORD dst_unused:UNUSED_PAD src0_sel:WORD_1 src1_sel:DWORD
	v_lshrrev_b32_e32 v26, 16, v10
	v_mul_f64 v[2:3], v[5:6], s[18:19]
	v_and_or_b32 v11, 0x8000, v12, v11
	v_cndmask_b32_e32 v1, v19, v1, vcc_lo
	v_lshrrev_b32_e32 v19, v20, v18
	v_fma_f16 v5, v63, v16, -v21
	v_and_b32_e32 v12, 0xffff, v15
	global_store_dword v[7:8], v22, off
	v_and_b32_e32 v6, 7, v1
	v_lshlrev_b32_e32 v16, v20, v19
	v_lshrrev_b32_e32 v1, 2, v1
	v_cvt_f32_f16_e32 v5, v5
	v_cmp_lt_i32_e32 vcc_lo, 5, v6
	v_cmp_ne_u32_e64 s0, v16, v18
	v_add_nc_u32_e32 v16, 0xfffffc10, v25
	v_cndmask_b32_e64 v15, 0, 1, s0
	v_cmp_eq_u32_e64 s0, 3, v6
	v_cvt_f64_f32_e32 v[5:6], v5
	v_lshl_or_b32 v18, v16, 12, v9
	v_and_or_b32 v20, 0x1ff, v3, v2
	v_or_b32_e32 v15, v19, v15
	s_or_b32 vcc_lo, s0, vcc_lo
	v_add_co_ci_u32_e32 v19, vcc_lo, 0, v1, vcc_lo
	v_cmp_ne_u32_e32 vcc_lo, 0, v17
	ds_read2_b32 v[1:2], v74 offset0:56 offset1:191
	v_cndmask_b32_e64 v17, 0, 1, vcc_lo
	v_cmp_gt_i32_e32 vcc_lo, 1, v16
	v_lshl_or_b32 v17, v17, 9, 0x7c00
	v_cndmask_b32_e32 v15, v18, v15, vcc_lo
	v_cmp_ne_u32_e32 vcc_lo, 0, v20
	v_lshl_or_b32 v18, v11, 16, v12
	v_lshrrev_b32_e32 v12, 8, v3
	v_bfe_u32 v20, v3, 20, 11
	v_and_b32_e32 v21, 7, v15
	v_cndmask_b32_e64 v11, 0, 1, vcc_lo
	v_cmp_gt_i32_e32 vcc_lo, 31, v13
	v_mul_f64 v[5:6], v[5:6], s[18:19]
	v_lshrrev_b32_e32 v15, 2, v15
	v_cmp_eq_u32_e64 s0, 3, v21
	v_and_or_b32 v23, 0xffe, v12, v11
	v_cndmask_b32_e32 v19, 0x7c00, v19, vcc_lo
	v_cmp_eq_u32_e32 vcc_lo, 0x40f, v13
	v_sub_nc_u32_e32 v11, 0x3f1, v20
	v_add_nc_u32_e32 v20, 0xfffffc10, v20
	v_or_b32_e32 v12, 0x1000, v23
	v_lshrrev_b32_e32 v3, 16, v3
	v_cndmask_b32_e32 v13, v19, v17, vcc_lo
	s_waitcnt lgkmcnt(0)
	v_lshrrev_b32_e32 v17, 16, v1
	v_cmp_lt_i32_e32 vcc_lo, 5, v21
	v_med3_i32 v11, v11, 0, 13
	v_and_or_b32 v13, 0x8000, v14, v13
	v_mul_f16_sdwa v19, v62, v17 dst_sel:DWORD dst_unused:UNUSED_PAD src0_sel:WORD_1 src1_sel:DWORD
	s_or_b32 vcc_lo, s0, vcc_lo
	v_lshrrev_b32_e32 v21, v11, v12
	v_add_co_ci_u32_e32 v15, vcc_lo, 0, v15, vcc_lo
	v_cmp_ne_u32_e32 vcc_lo, 0, v9
	v_fmac_f16_e32 v19, v62, v1
	v_lshlrev_b32_e32 v11, v11, v21
	v_and_or_b32 v5, 0x1ff, v6, v5
	v_bfe_u32 v25, v6, 20, 11
	v_cndmask_b32_e64 v9, 0, 1, vcc_lo
	v_cmp_gt_i32_e32 vcc_lo, 31, v16
	v_cvt_f32_f16_e32 v19, v19
	v_mul_f16_sdwa v1, v62, v1 dst_sel:DWORD dst_unused:UNUSED_PAD src0_sel:WORD_1 src1_sel:DWORD
	v_and_b32_e32 v13, 0xffff, v13
	v_lshl_or_b32 v9, v9, 9, 0x7c00
	v_cndmask_b32_e32 v15, 0x7c00, v15, vcc_lo
	v_cmp_ne_u32_e32 vcc_lo, v11, v12
	v_cvt_f64_f32_e32 v[11:12], v19
	v_lshrrev_b32_e32 v19, 8, v6
	v_fma_f16 v1, v62, v17, -v1
	v_add_nc_u32_e32 v17, 0xfffffc10, v25
	v_cndmask_b32_e64 v24, 0, 1, vcc_lo
	v_cmp_ne_u32_e32 vcc_lo, 0, v5
	v_lshrrev_b32_e32 v6, 16, v6
	v_cvt_f32_f16_e32 v1, v1
	v_or_b32_e32 v21, v21, v24
	v_cndmask_b32_e64 v5, 0, 1, vcc_lo
	v_cmp_eq_u32_e32 vcc_lo, 0x40f, v16
	v_lshl_or_b32 v24, v20, 12, v23
	v_and_or_b32 v5, 0xffe, v19, v5
	v_sub_nc_u32_e32 v19, 0x3f1, v25
	v_cndmask_b32_e32 v15, v15, v9, vcc_lo
	v_cmp_gt_i32_e32 vcc_lo, 1, v20
	v_or_b32_e32 v16, 0x1000, v5
	v_med3_i32 v19, v19, 0, 13
	v_mul_f64 v[11:12], v[11:12], s[18:19]
	v_cndmask_b32_e32 v21, v24, v21, vcc_lo
	v_add_co_u32 v9, vcc_lo, v7, s20
	v_lshrrev_b32_e32 v24, v19, v16
	v_add_co_ci_u32_e32 v10, vcc_lo, s15, v8, vcc_lo
	v_and_b32_e32 v14, 7, v21
	v_lshrrev_b32_e32 v7, 2, v21
	v_lshlrev_b32_e32 v19, v19, v24
	v_and_or_b32 v15, 0x8000, v26, v15
	global_store_dword v[9:10], v18, off
	v_cmp_lt_i32_e32 vcc_lo, 5, v14
	v_cmp_eq_u32_e64 s0, 3, v14
	v_cmp_ne_u32_e64 s1, v19, v16
	v_lshl_or_b32 v19, v17, 12, v5
	s_or_b32 vcc_lo, s0, vcc_lo
	v_cndmask_b32_e64 v8, 0, 1, s1
	v_add_co_ci_u32_e32 v14, vcc_lo, 0, v7, vcc_lo
	v_cmp_ne_u32_e32 vcc_lo, 0, v23
	v_lshrrev_b32_e32 v22, 8, v12
	v_or_b32_e32 v16, v24, v8
	v_cvt_f64_f32_e32 v[7:8], v1
	v_and_or_b32 v1, 0x1ff, v12, v11
	v_cndmask_b32_e64 v11, 0, 1, vcc_lo
	v_cmp_gt_i32_e32 vcc_lo, 1, v17
	v_bfe_u32 v23, v12, 20, 11
	v_lshrrev_b32_e32 v24, 16, v4
	v_lshrrev_b32_e32 v12, 16, v12
	v_lshl_or_b32 v11, v11, 9, 0x7c00
	v_cndmask_b32_e32 v16, v19, v16, vcc_lo
	v_cmp_gt_i32_e32 vcc_lo, 31, v20
	v_lshl_or_b32 v19, v15, 16, v13
	v_mul_f16_sdwa v25, v61, v24 dst_sel:DWORD dst_unused:UNUSED_PAD src0_sel:WORD_1 src1_sel:DWORD
	v_and_b32_e32 v15, 7, v16
	v_cndmask_b32_e32 v21, 0x7c00, v14, vcc_lo
	v_cmp_ne_u32_e32 vcc_lo, 0, v1
	v_fmac_f16_e32 v25, v61, v4
	v_mul_f16_sdwa v4, v61, v4 dst_sel:DWORD dst_unused:UNUSED_PAD src0_sel:WORD_1 src1_sel:DWORD
	v_cmp_eq_u32_e64 s0, 3, v15
	v_cndmask_b32_e64 v1, 0, 1, vcc_lo
	v_add_co_u32 v13, vcc_lo, v9, s20
	v_add_co_ci_u32_e32 v14, vcc_lo, s15, v10, vcc_lo
	v_cmp_lt_i32_e32 vcc_lo, 5, v15
	v_lshrrev_b32_e32 v15, 2, v16
	v_and_or_b32 v1, 0xffe, v22, v1
	v_sub_nc_u32_e32 v22, 0x3f1, v23
	v_mul_f64 v[7:8], v[7:8], s[18:19]
	s_or_b32 vcc_lo, s0, vcc_lo
	v_cvt_f32_f16_e32 v25, v25
	v_add_co_ci_u32_e32 v15, vcc_lo, 0, v15, vcc_lo
	v_cmp_ne_u32_e32 vcc_lo, 0, v5
	v_or_b32_e32 v26, 0x1000, v1
	v_med3_i32 v16, v22, 0, 13
	global_store_dword v[13:14], v19, off
	v_fma_f16 v4, v61, v24, -v4
	v_cndmask_b32_e64 v5, 0, 1, vcc_lo
	v_cmp_gt_i32_e32 vcc_lo, 31, v17
	v_lshrrev_b32_e32 v22, v16, v26
	v_cvt_f32_f16_e32 v4, v4
	v_lshl_or_b32 v5, v5, 9, 0x7c00
	v_cndmask_b32_e32 v27, 0x7c00, v15, vcc_lo
	v_cmp_eq_u32_e32 vcc_lo, 0x40f, v20
	v_lshlrev_b32_e32 v28, v16, v22
	v_cvt_f64_f32_e32 v[15:16], v25
	v_cndmask_b32_e32 v11, v21, v11, vcc_lo
	v_cmp_eq_u32_e32 vcc_lo, 0x40f, v17
	v_and_or_b32 v7, 0x1ff, v8, v7
	v_lshrrev_b32_e32 v20, 8, v8
	v_bfe_u32 v21, v8, 20, 11
	v_and_or_b32 v3, 0x8000, v3, v11
	v_cndmask_b32_e32 v5, v27, v5, vcc_lo
	v_cmp_ne_u32_e32 vcc_lo, v28, v26
	v_add_nc_u32_e32 v17, 0xfffffc10, v23
	v_lshrrev_b32_e32 v8, 16, v8
	v_and_b32_e32 v3, 0xffff, v3
	v_and_or_b32 v23, 0x8000, v6, v5
	v_cndmask_b32_e64 v11, 0, 1, vcc_lo
	v_cmp_ne_u32_e32 vcc_lo, 0, v7
	v_lshl_or_b32 v3, v23, 16, v3
	v_or_b32_e32 v11, v22, v11
	v_cndmask_b32_e64 v7, 0, 1, vcc_lo
	v_mul_f64 v[5:6], v[15:16], s[18:19]
	v_lshl_or_b32 v22, v17, 12, v1
	v_cmp_gt_i32_e32 vcc_lo, 1, v17
	v_lshrrev_b32_e32 v23, 16, v2
	v_and_or_b32 v7, 0xffe, v20, v7
	v_sub_nc_u32_e32 v20, 0x3f1, v21
	v_cndmask_b32_e32 v11, v22, v11, vcc_lo
	v_add_co_u32 v9, vcc_lo, v13, s3
	v_or_b32_e32 v15, 0x1000, v7
	v_med3_i32 v16, v20, 0, 13
	v_add_co_ci_u32_e32 v10, vcc_lo, s2, v14, vcc_lo
	v_and_b32_e32 v18, 7, v11
	v_lshrrev_b32_e32 v11, 2, v11
	v_lshrrev_b32_e32 v19, v16, v15
	global_store_dword v[9:10], v3, off
	v_cvt_f64_f32_e32 v[3:4], v4
	v_cmp_lt_i32_e32 vcc_lo, 5, v18
	v_cmp_eq_u32_e64 s0, 3, v18
	v_lshlrev_b32_e32 v13, v16, v19
	v_and_or_b32 v5, 0x1ff, v6, v5
	v_lshrrev_b32_e32 v16, 16, v0
	v_lshrrev_b32_e32 v14, 8, v6
	v_bfe_u32 v18, v6, 20, 11
	v_cmp_ne_u32_e64 s1, v13, v15
	v_add_nc_u32_e32 v15, 0xfffffc10, v21
	v_mul_f16_sdwa v20, v60, v16 dst_sel:DWORD dst_unused:UNUSED_PAD src0_sel:WORD_1 src1_sel:DWORD
	s_or_b32 vcc_lo, s0, vcc_lo
	v_cndmask_b32_e64 v13, 0, 1, s1
	v_cmp_ne_u32_e64 s1, 0, v5
	v_add_co_ci_u32_e32 v11, vcc_lo, 0, v11, vcc_lo
	v_cmp_ne_u32_e32 vcc_lo, 0, v1
	v_or_b32_e32 v13, v19, v13
	v_cndmask_b32_e64 v5, 0, 1, s1
	v_lshl_or_b32 v19, v15, 12, v7
	v_cmp_gt_i32_e64 s1, 1, v15
	v_fmac_f16_e32 v20, v60, v0
	v_cndmask_b32_e64 v1, 0, 1, vcc_lo
	v_and_or_b32 v5, 0xffe, v14, v5
	v_sub_nc_u32_e32 v14, 0x3f1, v18
	v_cndmask_b32_e64 v19, v19, v13, s1
	v_cmp_gt_i32_e64 s1, 31, v17
	v_mul_f64 v[3:4], v[3:4], s[18:19]
	v_or_b32_e32 v21, 0x1000, v5
	v_med3_i32 v22, v14, 0, 13
	v_and_b32_e32 v13, 7, v19
	v_cvt_f32_f16_e32 v14, v20
	v_lshrrev_b32_e32 v19, 2, v19
	v_cndmask_b32_e64 v11, 0x7c00, v11, s1
	v_lshrrev_b32_e32 v20, v22, v21
	v_cmp_lt_i32_e32 vcc_lo, 5, v13
	v_cmp_eq_u32_e64 s0, 3, v13
	v_cvt_f64_f32_e32 v[13:14], v14
	v_lshl_or_b32 v1, v1, 9, 0x7c00
	v_lshlrev_b32_e32 v22, v22, v20
	v_mul_f16_sdwa v0, v60, v0 dst_sel:DWORD dst_unused:UNUSED_PAD src0_sel:WORD_1 src1_sel:DWORD
	s_or_b32 vcc_lo, s0, vcc_lo
	v_add_co_ci_u32_e32 v19, vcc_lo, 0, v19, vcc_lo
	v_cmp_eq_u32_e32 vcc_lo, 0x40f, v17
	v_add_nc_u32_e32 v17, 0xfffffc10, v18
	v_fma_f16 v0, v60, v16, -v0
	v_and_or_b32 v3, 0x1ff, v4, v3
	v_cndmask_b32_e32 v1, v11, v1, vcc_lo
	v_cmp_ne_u32_e32 vcc_lo, 0, v7
	v_cvt_f32_f16_e32 v0, v0
	v_and_or_b32 v1, 0x8000, v12, v1
	v_cndmask_b32_e64 v7, 0, 1, vcc_lo
	v_cmp_ne_u32_e32 vcc_lo, v22, v21
	v_mul_f64 v[13:14], v[13:14], s[18:19]
	v_and_b32_e32 v16, 0xffff, v1
	v_lshl_or_b32 v7, v7, 9, 0x7c00
	v_cndmask_b32_e64 v11, 0, 1, vcc_lo
	v_cmp_gt_i32_e32 vcc_lo, 31, v15
	v_cvt_f64_f32_e32 v[0:1], v0
	v_or_b32_e32 v11, v20, v11
	v_cndmask_b32_e32 v18, 0x7c00, v19, vcc_lo
	v_lshl_or_b32 v19, v17, 12, v5
	v_cmp_gt_i32_e32 vcc_lo, 1, v17
	v_cndmask_b32_e32 v11, v19, v11, vcc_lo
	v_cmp_ne_u32_e32 vcc_lo, 0, v3
	v_lshrrev_b32_e32 v19, 8, v4
	v_cndmask_b32_e64 v3, 0, 1, vcc_lo
	v_cmp_eq_u32_e32 vcc_lo, 0x40f, v15
	v_bfe_u32 v15, v4, 20, 11
	v_bfe_u32 v20, v14, 20, 11
	v_lshrrev_b32_e32 v4, 16, v4
	v_and_or_b32 v19, 0xffe, v19, v3
	v_cndmask_b32_e32 v7, v18, v7, vcc_lo
	v_and_b32_e32 v18, 7, v11
	v_sub_nc_u32_e32 v3, 0x3f1, v15
	v_lshrrev_b32_e32 v11, 2, v11
	v_add_nc_u32_e32 v15, 0xfffffc10, v15
	v_and_or_b32 v12, 0x8000, v8, v7
	v_cmp_lt_i32_e32 vcc_lo, 5, v18
	v_cmp_eq_u32_e64 s0, 3, v18
	v_or_b32_e32 v7, 0x1000, v19
	v_med3_i32 v3, v3, 0, 13
	v_and_or_b32 v8, 0x1ff, v14, v13
	v_lshrrev_b32_e32 v18, 8, v14
	s_or_b32 vcc_lo, s0, vcc_lo
	v_add_co_ci_u32_e32 v11, vcc_lo, 0, v11, vcc_lo
	v_lshrrev_b32_e32 v13, v3, v7
	v_cmp_ne_u32_e32 vcc_lo, 0, v8
	v_lshlrev_b32_e32 v3, v3, v13
	v_cndmask_b32_e64 v8, 0, 1, vcc_lo
	v_cmp_gt_i32_e32 vcc_lo, 31, v17
	v_and_or_b32 v18, 0xffe, v18, v8
	v_cndmask_b32_e32 v11, 0x7c00, v11, vcc_lo
	v_sub_nc_u32_e32 v8, 0x3f1, v20
	v_cmp_ne_u32_e32 vcc_lo, v3, v7
	v_or_b32_e32 v21, 0x1000, v18
	v_med3_i32 v22, v8, 0, 13
	v_cndmask_b32_e64 v3, 0, 1, vcc_lo
	v_cmp_ne_u32_e32 vcc_lo, 0, v5
	v_mul_f64 v[7:8], v[0:1], s[18:19]
	v_lshrrev_b32_e32 v0, v22, v21
	v_or_b32_e32 v3, v13, v3
	v_cndmask_b32_e64 v5, 0, 1, vcc_lo
	v_lshl_or_b32 v13, v15, 12, v19
	v_cmp_gt_i32_e32 vcc_lo, 1, v15
	v_lshl_or_b32 v5, v5, 9, 0x7c00
	v_cndmask_b32_e32 v1, v13, v3, vcc_lo
	v_lshl_or_b32 v3, v12, 16, v16
	v_lshlrev_b32_e32 v12, v22, v0
	v_cmp_eq_u32_e32 vcc_lo, 0x40f, v17
	v_mul_f16_sdwa v13, v59, v23 dst_sel:DWORD dst_unused:UNUSED_PAD src0_sel:WORD_1 src1_sel:DWORD
	v_and_b32_e32 v16, 7, v1
	v_lshrrev_b32_e32 v1, 2, v1
	v_cmp_ne_u32_e64 s0, v12, v21
	v_cndmask_b32_e32 v11, v11, v5, vcc_lo
	v_fmac_f16_e32 v13, v59, v2
	v_cmp_lt_i32_e32 vcc_lo, 5, v16
	v_lshrrev_b32_e32 v17, 16, v6
	v_cndmask_b32_e64 v5, 0, 1, s0
	v_cmp_eq_u32_e64 s0, 3, v16
	v_cvt_f32_f16_e32 v6, v13
	v_add_nc_u32_e32 v12, 0xfffffc10, v20
	v_and_or_b32 v7, 0x1ff, v8, v7
	v_or_b32_e32 v0, v0, v5
	s_or_b32 vcc_lo, s0, vcc_lo
	v_cvt_f64_f32_e32 v[5:6], v6
	v_add_co_ci_u32_e32 v1, vcc_lo, 0, v1, vcc_lo
	v_cmp_ne_u32_e32 vcc_lo, 0, v19
	v_lshl_or_b32 v13, v12, 12, v18
	v_lshrrev_b32_e32 v19, 8, v8
	v_bfe_u32 v21, v8, 20, 11
	v_and_or_b32 v11, 0x8000, v17, v11
	v_cndmask_b32_e64 v16, 0, 1, vcc_lo
	v_cmp_gt_i32_e32 vcc_lo, 1, v12
	v_mul_f16_sdwa v2, v59, v2 dst_sel:DWORD dst_unused:UNUSED_PAD src0_sel:WORD_1 src1_sel:DWORD
	v_and_b32_e32 v11, 0xffff, v11
	v_lshl_or_b32 v16, v16, 9, 0x7c00
	v_cndmask_b32_e32 v13, v13, v0, vcc_lo
	v_cmp_ne_u32_e32 vcc_lo, 0, v7
	v_fma_f16 v2, v59, v23, -v2
	v_cndmask_b32_e64 v7, 0, 1, vcc_lo
	v_cmp_gt_i32_e32 vcc_lo, 31, v15
	v_mul_f64 v[5:6], v[5:6], s[18:19]
	v_cvt_f32_f16_e32 v2, v2
	v_and_or_b32 v7, 0xffe, v19, v7
	v_cndmask_b32_e32 v20, 0x7c00, v1, vcc_lo
	v_add_co_u32 v0, vcc_lo, v9, s20
	v_add_co_ci_u32_e32 v1, vcc_lo, s15, v10, vcc_lo
	v_sub_nc_u32_e32 v10, 0x3f1, v21
	v_cmp_eq_u32_e32 vcc_lo, 0x40f, v15
	v_and_b32_e32 v9, 7, v13
	v_lshrrev_b32_e32 v13, 2, v13
	v_med3_i32 v10, v10, 0, 13
	v_cndmask_b32_e32 v15, v20, v16, vcc_lo
	v_or_b32_e32 v16, 0x1000, v7
	v_cmp_lt_i32_e32 vcc_lo, 5, v9
	v_cmp_eq_u32_e64 s0, 3, v9
	v_and_or_b32 v4, 0x8000, v4, v15
	v_lshrrev_b32_e32 v9, v10, v16
	ds_read_b32 v15, v57 offset:7560
	s_or_b32 vcc_lo, s0, vcc_lo
	v_lshrrev_b32_e32 v19, 8, v6
	v_add_co_ci_u32_e32 v13, vcc_lo, 0, v13, vcc_lo
	v_lshlrev_b32_e32 v10, v10, v9
	v_cmp_ne_u32_e32 vcc_lo, 0, v18
	v_lshl_or_b32 v18, v4, 16, v11
	v_and_or_b32 v11, 0x1ff, v6, v5
	v_cvt_f64_f32_e32 v[4:5], v2
	v_bfe_u32 v20, v6, 20, 11
	v_cndmask_b32_e64 v17, 0, 1, vcc_lo
	v_cmp_ne_u32_e32 vcc_lo, v10, v16
	v_add_nc_u32_e32 v16, 0xfffffc10, v21
	v_lshrrev_b32_e32 v6, 16, v6
	v_cndmask_b32_e64 v10, 0, 1, vcc_lo
	v_cmp_gt_i32_e32 vcc_lo, 31, v12
	v_or_b32_e32 v9, v9, v10
	v_cndmask_b32_e32 v13, 0x7c00, v13, vcc_lo
	v_cmp_ne_u32_e32 vcc_lo, 0, v11
	s_waitcnt lgkmcnt(0)
	v_lshrrev_b32_e32 v11, 16, v15
	v_lshl_or_b32 v10, v16, 12, v7
	v_cndmask_b32_e64 v2, 0, 1, vcc_lo
	v_cmp_gt_i32_e32 vcc_lo, 1, v16
	v_mul_f16_sdwa v21, v58, v11 dst_sel:DWORD dst_unused:UNUSED_PAD src0_sel:WORD_1 src1_sel:DWORD
	v_mul_f64 v[4:5], v[4:5], s[18:19]
	v_and_or_b32 v2, 0xffe, v19, v2
	v_sub_nc_u32_e32 v19, 0x3f1, v20
	v_cndmask_b32_e32 v22, v10, v9, vcc_lo
	v_lshl_or_b32 v9, v17, 9, 0x7c00
	v_fmac_f16_e32 v21, v58, v15
	v_or_b32_e32 v17, 0x1000, v2
	v_med3_i32 v19, v19, 0, 13
	v_and_b32_e32 v23, 7, v22
	v_cmp_eq_u32_e32 vcc_lo, 0x40f, v12
	v_cvt_f32_f16_e32 v10, v21
	v_lshrrev_b32_e32 v12, v19, v17
	v_cmp_eq_u32_e64 s0, 3, v23
	v_cndmask_b32_e32 v21, v13, v9, vcc_lo
	v_cmp_lt_i32_e32 vcc_lo, 5, v23
	v_mul_f16_sdwa v13, v58, v15 dst_sel:DWORD dst_unused:UNUSED_PAD src0_sel:WORD_1 src1_sel:DWORD
	v_lshrrev_b32_e32 v15, 16, v14
	v_lshrrev_b32_e32 v14, 2, v22
	v_lshlrev_b32_e32 v19, v19, v12
	s_or_b32 vcc_lo, s0, vcc_lo
	v_cvt_f64_f32_e32 v[9:10], v10
	v_fma_f16 v11, v58, v11, -v13
	v_add_co_ci_u32_e32 v13, vcc_lo, 0, v14, vcc_lo
	v_cmp_ne_u32_e32 vcc_lo, v19, v17
	v_add_nc_u32_e32 v17, 0xfffffc10, v20
	v_cvt_f32_f16_e32 v11, v11
	v_and_or_b32 v4, 0x1ff, v5, v4
	v_and_or_b32 v15, 0x8000, v15, v21
	v_cndmask_b32_e64 v14, 0, 1, vcc_lo
	v_cmp_ne_u32_e32 vcc_lo, 0, v7
	v_lshl_or_b32 v20, v17, 12, v2
	v_and_b32_e32 v15, 0xffff, v15
	v_or_b32_e32 v19, v12, v14
	v_cndmask_b32_e64 v7, 0, 1, vcc_lo
	v_cmp_gt_i32_e32 vcc_lo, 31, v16
	v_cvt_f64_f32_e32 v[11:12], v11
	v_lshl_or_b32 v7, v7, 9, 0x7c00
	v_cndmask_b32_e32 v22, 0x7c00, v13, vcc_lo
	v_add_co_u32 v13, vcc_lo, v0, s20
	v_add_co_ci_u32_e32 v14, vcc_lo, s15, v1, vcc_lo
	v_cmp_gt_i32_e32 vcc_lo, 1, v17
	v_mul_f64 v[9:10], v[9:10], s[18:19]
	v_cndmask_b32_e32 v19, v20, v19, vcc_lo
	v_cmp_eq_u32_e32 vcc_lo, 0x40f, v16
	v_bfe_u32 v20, v5, 20, 11
	v_and_b32_e32 v23, 7, v19
	v_cndmask_b32_e32 v16, v22, v7, vcc_lo
	v_cmp_ne_u32_e32 vcc_lo, 0, v4
	v_lshrrev_b32_e32 v7, 8, v5
	v_lshrrev_b32_e32 v22, 16, v8
	v_sub_nc_u32_e32 v21, 0x3f1, v20
	v_cmp_eq_u32_e64 s0, 3, v23
	v_cndmask_b32_e64 v4, 0, 1, vcc_lo
	v_cmp_lt_i32_e32 vcc_lo, 5, v23
	v_lshrrev_b32_e32 v19, 2, v19
	v_lshrrev_b32_e32 v5, 16, v5
	v_and_or_b32 v4, 0xffe, v7, v4
	v_mul_f64 v[7:8], v[11:12], s[18:19]
	v_and_or_b32 v11, 0x8000, v22, v16
	v_med3_i32 v16, v21, 0, 13
	v_and_or_b32 v9, 0x1ff, v10, v9
	v_or_b32_e32 v12, 0x1000, v4
	s_or_b32 vcc_lo, s0, vcc_lo
	v_lshrrev_b32_e32 v22, 8, v10
	v_add_co_ci_u32_e32 v19, vcc_lo, 0, v19, vcc_lo
	v_lshrrev_b32_e32 v21, v16, v12
	v_cmp_ne_u32_e32 vcc_lo, 0, v9
	v_bfe_u32 v23, v10, 20, 11
	v_lshrrev_b32_e32 v10, 16, v10
	v_lshl_or_b32 v11, v11, 16, v15
	v_lshlrev_b32_e32 v16, v16, v21
	v_cndmask_b32_e64 v9, 0, 1, vcc_lo
	v_cmp_ne_u32_e32 vcc_lo, 0, v2
	v_and_or_b32 v9, 0xffe, v22, v9
	v_cndmask_b32_e64 v2, 0, 1, vcc_lo
	v_cmp_ne_u32_e32 vcc_lo, v16, v12
	v_sub_nc_u32_e32 v22, 0x3f1, v23
	v_and_or_b32 v7, 0x1ff, v8, v7
	v_add_nc_u32_e32 v16, 0xfffffc10, v20
	v_or_b32_e32 v20, 0x1000, v9
	v_cndmask_b32_e64 v12, 0, 1, vcc_lo
	v_cmp_gt_i32_e32 vcc_lo, 31, v17
	v_med3_i32 v22, v22, 0, 13
	v_lshrrev_b32_e32 v24, 8, v8
	v_bfe_u32 v25, v8, 20, 11
	v_or_b32_e32 v12, v21, v12
	v_cndmask_b32_e32 v19, 0x7c00, v19, vcc_lo
	v_cmp_ne_u32_e32 vcc_lo, 0, v7
	v_lshl_or_b32 v21, v16, 12, v4
	v_lshrrev_b32_e32 v26, v22, v20
	v_lshl_or_b32 v2, v2, 9, 0x7c00
	v_cndmask_b32_e64 v7, 0, 1, vcc_lo
	v_cmp_gt_i32_e32 vcc_lo, 1, v16
	v_and_or_b32 v7, 0xffe, v24, v7
	v_sub_nc_u32_e32 v24, 0x3f1, v25
	v_cndmask_b32_e32 v12, v21, v12, vcc_lo
	v_lshlrev_b32_e32 v21, v22, v26
	v_cmp_eq_u32_e32 vcc_lo, 0x40f, v17
	v_or_b32_e32 v22, 0x1000, v7
	v_med3_i32 v24, v24, 0, 13
	v_and_b32_e32 v27, 7, v12
	v_lshrrev_b32_e32 v12, 2, v12
	v_cndmask_b32_e32 v2, v19, v2, vcc_lo
	v_cmp_ne_u32_e32 vcc_lo, v21, v20
	v_add_nc_u32_e32 v19, 0xfffffc10, v23
	v_lshrrev_b32_e32 v20, v24, v22
	v_cmp_eq_u32_e64 s0, 3, v27
	v_and_or_b32 v2, 0x8000, v6, v2
	v_cndmask_b32_e64 v17, 0, 1, vcc_lo
	v_lshl_or_b32 v21, v19, 12, v9
	v_lshlrev_b32_e32 v23, v24, v20
	v_cmp_gt_i32_e64 s1, 1, v19
	v_cmp_lt_i32_e32 vcc_lo, 5, v27
	v_or_b32_e32 v17, v26, v17
	v_and_b32_e32 v2, 0xffff, v2
	s_or_b32 vcc_lo, s0, vcc_lo
	v_cndmask_b32_e64 v17, v21, v17, s1
	v_cmp_ne_u32_e64 s1, v23, v22
	v_add_nc_u32_e32 v22, 0xfffffc10, v25
	v_add_co_ci_u32_e32 v12, vcc_lo, 0, v12, vcc_lo
	v_and_b32_e32 v23, 7, v17
	v_cndmask_b32_e64 v21, 0, 1, s1
	v_cmp_ne_u32_e32 vcc_lo, 0, v4
	v_cmp_gt_i32_e64 s0, 1, v22
	v_lshrrev_b32_e32 v17, 2, v17
	v_cmp_gt_i32_e64 s1, 31, v16
	v_or_b32_e32 v20, v20, v21
	v_lshl_or_b32 v21, v22, 12, v7
	v_cndmask_b32_e64 v4, 0, 1, vcc_lo
	v_cmp_lt_i32_e32 vcc_lo, 5, v23
	v_cndmask_b32_e64 v12, 0x7c00, v12, s1
	v_cmp_eq_u32_e64 s1, 0x40f, v16
	v_cndmask_b32_e64 v6, v21, v20, s0
	v_cmp_eq_u32_e64 s0, 3, v23
	v_lshl_or_b32 v4, v4, 9, 0x7c00
	v_and_b32_e32 v20, 7, v6
	s_or_b32 vcc_lo, s0, vcc_lo
	v_lshrrev_b32_e32 v6, 2, v6
	v_add_co_ci_u32_e32 v17, vcc_lo, 0, v17, vcc_lo
	v_cmp_ne_u32_e32 vcc_lo, 0, v9
	v_cmp_eq_u32_e64 s0, 3, v20
	v_cndmask_b32_e64 v4, v12, v4, s1
	v_cmp_gt_i32_e64 s1, 31, v19
	v_cndmask_b32_e64 v9, 0, 1, vcc_lo
	v_cmp_lt_i32_e32 vcc_lo, 5, v20
	v_cndmask_b32_e64 v12, 0x7c00, v17, s1
	v_lshl_or_b32 v9, v9, 9, 0x7c00
	s_or_b32 vcc_lo, s0, vcc_lo
	v_add_co_ci_u32_e32 v6, vcc_lo, 0, v6, vcc_lo
	v_cmp_ne_u32_e32 vcc_lo, 0, v7
	v_cndmask_b32_e64 v7, 0, 1, vcc_lo
	v_cmp_eq_u32_e32 vcc_lo, 0x40f, v19
	v_lshl_or_b32 v7, v7, 9, 0x7c00
	v_cndmask_b32_e32 v9, v12, v9, vcc_lo
	v_cmp_gt_i32_e32 vcc_lo, 31, v22
	v_and_or_b32 v12, 0x8000, v5, v4
	v_and_or_b32 v9, 0x8000, v10, v9
	v_cndmask_b32_e32 v6, 0x7c00, v6, vcc_lo
	v_cmp_eq_u32_e32 vcc_lo, 0x40f, v22
	v_lshl_or_b32 v2, v12, 16, v2
	v_and_b32_e32 v9, 0xffff, v9
	v_cndmask_b32_e32 v6, v6, v7, vcc_lo
	v_lshrrev_b32_e32 v7, 16, v8
	v_add_co_u32 v4, vcc_lo, v13, s3
	v_add_co_ci_u32_e32 v5, vcc_lo, s2, v14, vcc_lo
	v_and_or_b32 v8, 0x8000, v7, v6
	v_add_co_u32 v6, vcc_lo, v4, s20
	v_add_co_ci_u32_e32 v7, vcc_lo, s15, v5, vcc_lo
	v_lshl_or_b32 v10, v8, 16, v9
	v_add_co_u32 v8, vcc_lo, v6, s20
	v_add_co_ci_u32_e32 v9, vcc_lo, s15, v7, vcc_lo
	global_store_dword v[0:1], v3, off
	global_store_dword v[13:14], v18, off
	;; [unrolled: 1-line block ×5, first 2 shown]
.LBB0_2:
	s_endpgm
	.section	.rodata,"a",@progbits
	.p2align	6, 0x0
	.amdhsa_kernel bluestein_single_fwd_len2025_dim1_half_op_CI_CI
		.amdhsa_group_segment_fixed_size 8100
		.amdhsa_private_segment_fixed_size 0
		.amdhsa_kernarg_size 104
		.amdhsa_user_sgpr_count 6
		.amdhsa_user_sgpr_private_segment_buffer 1
		.amdhsa_user_sgpr_dispatch_ptr 0
		.amdhsa_user_sgpr_queue_ptr 0
		.amdhsa_user_sgpr_kernarg_segment_ptr 1
		.amdhsa_user_sgpr_dispatch_id 0
		.amdhsa_user_sgpr_flat_scratch_init 0
		.amdhsa_user_sgpr_private_segment_size 0
		.amdhsa_wavefront_size32 1
		.amdhsa_uses_dynamic_stack 0
		.amdhsa_system_sgpr_private_segment_wavefront_offset 0
		.amdhsa_system_sgpr_workgroup_id_x 1
		.amdhsa_system_sgpr_workgroup_id_y 0
		.amdhsa_system_sgpr_workgroup_id_z 0
		.amdhsa_system_sgpr_workgroup_info 0
		.amdhsa_system_vgpr_workitem_id 0
		.amdhsa_next_free_vgpr 143
		.amdhsa_next_free_sgpr 21
		.amdhsa_reserve_vcc 1
		.amdhsa_reserve_flat_scratch 0
		.amdhsa_float_round_mode_32 0
		.amdhsa_float_round_mode_16_64 0
		.amdhsa_float_denorm_mode_32 3
		.amdhsa_float_denorm_mode_16_64 3
		.amdhsa_dx10_clamp 1
		.amdhsa_ieee_mode 1
		.amdhsa_fp16_overflow 0
		.amdhsa_workgroup_processor_mode 1
		.amdhsa_memory_ordered 1
		.amdhsa_forward_progress 0
		.amdhsa_shared_vgpr_count 0
		.amdhsa_exception_fp_ieee_invalid_op 0
		.amdhsa_exception_fp_denorm_src 0
		.amdhsa_exception_fp_ieee_div_zero 0
		.amdhsa_exception_fp_ieee_overflow 0
		.amdhsa_exception_fp_ieee_underflow 0
		.amdhsa_exception_fp_ieee_inexact 0
		.amdhsa_exception_int_div_zero 0
	.end_amdhsa_kernel
	.text
.Lfunc_end0:
	.size	bluestein_single_fwd_len2025_dim1_half_op_CI_CI, .Lfunc_end0-bluestein_single_fwd_len2025_dim1_half_op_CI_CI
                                        ; -- End function
	.section	.AMDGPU.csdata,"",@progbits
; Kernel info:
; codeLenInByte = 26512
; NumSgprs: 23
; NumVgprs: 143
; ScratchSize: 0
; MemoryBound: 0
; FloatMode: 240
; IeeeMode: 1
; LDSByteSize: 8100 bytes/workgroup (compile time only)
; SGPRBlocks: 2
; VGPRBlocks: 17
; NumSGPRsForWavesPerEU: 23
; NumVGPRsForWavesPerEU: 143
; Occupancy: 7
; WaveLimiterHint : 1
; COMPUTE_PGM_RSRC2:SCRATCH_EN: 0
; COMPUTE_PGM_RSRC2:USER_SGPR: 6
; COMPUTE_PGM_RSRC2:TRAP_HANDLER: 0
; COMPUTE_PGM_RSRC2:TGID_X_EN: 1
; COMPUTE_PGM_RSRC2:TGID_Y_EN: 0
; COMPUTE_PGM_RSRC2:TGID_Z_EN: 0
; COMPUTE_PGM_RSRC2:TIDIG_COMP_CNT: 0
	.text
	.p2alignl 6, 3214868480
	.fill 48, 4, 3214868480
	.type	__hip_cuid_bc0f381be124e07a,@object ; @__hip_cuid_bc0f381be124e07a
	.section	.bss,"aw",@nobits
	.globl	__hip_cuid_bc0f381be124e07a
__hip_cuid_bc0f381be124e07a:
	.byte	0                               ; 0x0
	.size	__hip_cuid_bc0f381be124e07a, 1

	.ident	"AMD clang version 19.0.0git (https://github.com/RadeonOpenCompute/llvm-project roc-6.4.0 25133 c7fe45cf4b819c5991fe208aaa96edf142730f1d)"
	.section	".note.GNU-stack","",@progbits
	.addrsig
	.addrsig_sym __hip_cuid_bc0f381be124e07a
	.amdgpu_metadata
---
amdhsa.kernels:
  - .args:
      - .actual_access:  read_only
        .address_space:  global
        .offset:         0
        .size:           8
        .value_kind:     global_buffer
      - .actual_access:  read_only
        .address_space:  global
        .offset:         8
        .size:           8
        .value_kind:     global_buffer
      - .actual_access:  read_only
        .address_space:  global
        .offset:         16
        .size:           8
        .value_kind:     global_buffer
      - .actual_access:  read_only
        .address_space:  global
        .offset:         24
        .size:           8
        .value_kind:     global_buffer
      - .actual_access:  read_only
        .address_space:  global
        .offset:         32
        .size:           8
        .value_kind:     global_buffer
      - .offset:         40
        .size:           8
        .value_kind:     by_value
      - .address_space:  global
        .offset:         48
        .size:           8
        .value_kind:     global_buffer
      - .address_space:  global
        .offset:         56
        .size:           8
        .value_kind:     global_buffer
      - .address_space:  global
        .offset:         64
        .size:           8
        .value_kind:     global_buffer
      - .address_space:  global
        .offset:         72
        .size:           8
        .value_kind:     global_buffer
      - .offset:         80
        .size:           4
        .value_kind:     by_value
      - .address_space:  global
        .offset:         88
        .size:           8
        .value_kind:     global_buffer
      - .address_space:  global
        .offset:         96
        .size:           8
        .value_kind:     global_buffer
    .group_segment_fixed_size: 8100
    .kernarg_segment_align: 8
    .kernarg_segment_size: 104
    .language:       OpenCL C
    .language_version:
      - 2
      - 0
    .max_flat_workgroup_size: 135
    .name:           bluestein_single_fwd_len2025_dim1_half_op_CI_CI
    .private_segment_fixed_size: 0
    .sgpr_count:     23
    .sgpr_spill_count: 0
    .symbol:         bluestein_single_fwd_len2025_dim1_half_op_CI_CI.kd
    .uniform_work_group_size: 1
    .uses_dynamic_stack: false
    .vgpr_count:     143
    .vgpr_spill_count: 0
    .wavefront_size: 32
    .workgroup_processor_mode: 1
amdhsa.target:   amdgcn-amd-amdhsa--gfx1030
amdhsa.version:
  - 1
  - 2
...

	.end_amdgpu_metadata
